;; amdgpu-corpus repo=ROCm/rocFFT kind=compiled arch=gfx906 opt=O3
	.text
	.amdgcn_target "amdgcn-amd-amdhsa--gfx906"
	.amdhsa_code_object_version 6
	.protected	bluestein_single_back_len2916_dim1_half_op_CI_CI ; -- Begin function bluestein_single_back_len2916_dim1_half_op_CI_CI
	.globl	bluestein_single_back_len2916_dim1_half_op_CI_CI
	.p2align	8
	.type	bluestein_single_back_len2916_dim1_half_op_CI_CI,@function
bluestein_single_back_len2916_dim1_half_op_CI_CI: ; @bluestein_single_back_len2916_dim1_half_op_CI_CI
; %bb.0:
	s_load_dwordx4 s[16:19], s[4:5], 0x28
	v_mul_u32_u24_e32 v1, 0x10e, v0
	v_add_u32_sdwa v8, s6, v1 dst_sel:DWORD dst_unused:UNUSED_PAD src0_sel:DWORD src1_sel:WORD_1
	v_mov_b32_e32 v9, 0
	s_waitcnt lgkmcnt(0)
	v_cmp_gt_u64_e32 vcc, s[16:17], v[8:9]
	s_and_saveexec_b64 s[0:1], vcc
	s_cbranch_execz .LBB0_2
; %bb.1:
	s_load_dwordx4 s[8:11], s[4:5], 0x18
	s_load_dwordx4 s[0:3], s[4:5], 0x0
	s_movk_i32 s7, 0xf3
	v_mul_lo_u16_sdwa v1, v1, s7 dst_sel:DWORD dst_unused:UNUSED_PAD src0_sel:WORD_1 src1_sel:DWORD
	v_sub_u16_e32 v57, v0, v1
	s_waitcnt lgkmcnt(0)
	s_load_dwordx4 s[12:15], s[8:9], 0x0
	v_lshlrev_b32_e32 v60, 2, v57
	global_load_dword v58, v60, s[0:1]
	global_load_dword v56, v60, s[0:1] offset:1944
	global_load_dword v54, v60, s[0:1] offset:3888
	s_waitcnt lgkmcnt(0)
	v_mad_u64_u32 v[0:1], s[8:9], s14, v8, 0
	v_mad_u64_u32 v[2:3], s[8:9], s12, v57, 0
	s_mul_i32 s6, s13, 0x798
	v_mov_b32_e32 v48, 0xffffddd4
	v_mad_u64_u32 v[4:5], s[8:9], s15, v8, v[1:2]
	v_add_u32_e32 v61, 0xf00, v60
	v_add_u32_e32 v55, 0x1e40, v60
	v_mad_u64_u32 v[5:6], s[8:9], s13, v57, v[3:4]
	v_mov_b32_e32 v1, v4
	v_lshlrev_b64 v[0:1], 2, v[0:1]
	v_mov_b32_e32 v6, s19
	v_mov_b32_e32 v3, v5
	v_add_co_u32_e32 v4, vcc, s18, v0
	v_addc_co_u32_e32 v5, vcc, v6, v1, vcc
	v_lshlrev_b64 v[0:1], 2, v[2:3]
	v_mov_b32_e32 v2, s1
	v_add_co_u32_e32 v0, vcc, v4, v0
	v_addc_co_u32_e32 v1, vcc, v5, v1, vcc
	v_add_co_u32_e32 v63, vcc, s0, v60
	s_mul_hi_u32 s8, s12, 0x798
	v_addc_co_u32_e32 v64, vcc, 0, v2, vcc
	s_add_i32 s6, s8, s6
	s_mul_i32 s8, s12, 0x798
	global_load_dword v6, v[0:1], off
	v_mov_b32_e32 v2, s6
	v_add_co_u32_e32 v0, vcc, s8, v0
	v_addc_co_u32_e32 v1, vcc, v1, v2, vcc
	v_mov_b32_e32 v3, s6
	v_add_co_u32_e32 v2, vcc, s8, v0
	v_addc_co_u32_e32 v3, vcc, v1, v3, vcc
	;; [unrolled: 3-line block ×3, first 2 shown]
	global_load_dword v7, v[0:1], off
	global_load_dword v9, v[2:3], off
	;; [unrolled: 1-line block ×3, first 2 shown]
	s_movk_i32 s9, 0x1000
	v_add_co_u32_e32 v0, vcc, s9, v63
	v_addc_co_u32_e32 v1, vcc, 0, v64, vcc
	global_load_dword v52, v[0:1], off offset:1736
	v_mov_b32_e32 v3, s6
	v_add_co_u32_e32 v2, vcc, s8, v4
	v_addc_co_u32_e32 v3, vcc, v5, v3, vcc
	global_load_dword v4, v[2:3], off
	global_load_dword v51, v[0:1], off offset:3680
	v_mov_b32_e32 v5, s6
	v_add_co_u32_e32 v2, vcc, s8, v2
	v_addc_co_u32_e32 v3, vcc, v3, v5, vcc
	s_movk_i32 s9, 0x2000
	v_add_co_u32_e32 v13, vcc, s9, v63
	global_load_dword v5, v[2:3], off
	v_addc_co_u32_e32 v14, vcc, 0, v64, vcc
	global_load_dword v50, v[13:14], off offset:1528
	v_mad_u64_u32 v[2:3], s[14:15], s12, v48, v[2:3]
	s_mul_i32 s9, s13, 0xffffddd4
	s_sub_i32 s9, s9, s12
	v_add_u32_e32 v3, s9, v3
	global_load_dword v11, v[2:3], off
	global_load_dword v47, v60, s[0:1] offset:2916
	global_load_dword v49, v60, s[0:1] offset:972
	v_mov_b32_e32 v12, s6
	v_add_co_u32_e32 v2, vcc, s8, v2
	v_addc_co_u32_e32 v3, vcc, v3, v12, vcc
	global_load_dword v12, v[2:3], off
	v_mov_b32_e32 v15, s6
	v_add_co_u32_e32 v2, vcc, s8, v2
	v_addc_co_u32_e32 v3, vcc, v3, v15, vcc
	global_load_dword v15, v[2:3], off
	global_load_dword v45, v[0:1], off offset:2708
	global_load_dword v46, v[0:1], off offset:764
	v_mov_b32_e32 v1, s6
	v_add_co_u32_e32 v0, vcc, s8, v2
	v_addc_co_u32_e32 v1, vcc, v3, v1, vcc
	global_load_dword v2, v[0:1], off
	v_mov_b32_e32 v3, s6
	v_add_co_u32_e32 v0, vcc, s8, v0
	v_addc_co_u32_e32 v1, vcc, v1, v3, vcc
	global_load_dword v3, v[0:1], off
	global_load_dword v43, v[13:14], off offset:2500
	global_load_dword v44, v[13:14], off offset:556
	v_mov_b32_e32 v16, s6
	v_add_co_u32_e32 v0, vcc, s8, v0
	v_addc_co_u32_e32 v1, vcc, v1, v16, vcc
	global_load_dword v0, v[0:1], off
	s_load_dwordx4 s[8:11], s[10:11], 0x0
	v_add_u32_e32 v59, 0x16c0, v60
	v_add_u32_e32 v53, 0x25e0, v60
	s_waitcnt vmcnt(20)
	v_lshrrev_b32_e32 v1, 16, v6
	v_mul_f16_sdwa v16, v58, v1 dst_sel:DWORD dst_unused:UNUSED_PAD src0_sel:WORD_1 src1_sel:DWORD
	v_fma_f16 v16, v58, v6, v16
	v_mul_f16_sdwa v6, v58, v6 dst_sel:DWORD dst_unused:UNUSED_PAD src0_sel:WORD_1 src1_sel:DWORD
	v_fma_f16 v1, v58, v1, -v6
	v_pack_b32_f16 v1, v16, v1
	v_add_u32_e32 v62, 0x780, v60
	s_movk_i32 s0, 0x3aee
	s_mov_b32 s6, 0xffff
	s_mov_b32 s1, 0xbaee3aee
	v_add_co_u32_e32 v31, vcc, s7, v57
	v_addc_co_u32_e64 v27, s[12:13], 0, 0, vcc
	s_waitcnt vmcnt(19)
	v_lshrrev_b32_e32 v6, 16, v7
	v_mul_f16_sdwa v16, v56, v6 dst_sel:DWORD dst_unused:UNUSED_PAD src0_sel:WORD_1 src1_sel:DWORD
	v_fma_f16 v16, v56, v7, v16
	v_mul_f16_sdwa v7, v56, v7 dst_sel:DWORD dst_unused:UNUSED_PAD src0_sel:WORD_1 src1_sel:DWORD
	v_fma_f16 v6, v56, v6, -v7
	v_pack_b32_f16 v6, v16, v6
	ds_write_b32 v60, v6 offset:1944
	s_waitcnt vmcnt(18)
	v_lshrrev_b32_e32 v6, 16, v9
	v_mul_f16_sdwa v7, v54, v6 dst_sel:DWORD dst_unused:UNUSED_PAD src0_sel:WORD_1 src1_sel:DWORD
	v_fma_f16 v7, v54, v9, v7
	v_mul_f16_sdwa v9, v54, v9 dst_sel:DWORD dst_unused:UNUSED_PAD src0_sel:WORD_1 src1_sel:DWORD
	v_fma_f16 v6, v54, v6, -v9
	v_pack_b32_f16 v6, v7, v6
	ds_write_b32 v60, v6 offset:3888
	s_waitcnt vmcnt(17)
	v_lshrrev_b32_e32 v6, 16, v10
	s_waitcnt vmcnt(16)
	v_mul_f16_sdwa v7, v52, v6 dst_sel:DWORD dst_unused:UNUSED_PAD src0_sel:WORD_1 src1_sel:DWORD
	v_mul_f16_sdwa v9, v52, v10 dst_sel:DWORD dst_unused:UNUSED_PAD src0_sel:WORD_1 src1_sel:DWORD
	v_fma_f16 v7, v52, v10, v7
	v_fma_f16 v6, v52, v6, -v9
	v_pack_b32_f16 v6, v7, v6
	ds_write_b32 v60, v6 offset:5832
	s_waitcnt vmcnt(15)
	v_lshrrev_b32_e32 v6, 16, v4
	s_waitcnt vmcnt(14)
	v_mul_f16_sdwa v7, v51, v6 dst_sel:DWORD dst_unused:UNUSED_PAD src0_sel:WORD_1 src1_sel:DWORD
	v_fma_f16 v7, v51, v4, v7
	v_mul_f16_sdwa v4, v51, v4 dst_sel:DWORD dst_unused:UNUSED_PAD src0_sel:WORD_1 src1_sel:DWORD
	v_fma_f16 v4, v51, v6, -v4
	v_pack_b32_f16 v4, v7, v4
	ds_write_b32 v60, v4 offset:7776
	s_waitcnt vmcnt(13)
	v_lshrrev_b32_e32 v4, 16, v5
	s_waitcnt vmcnt(12)
	v_mul_f16_sdwa v6, v50, v4 dst_sel:DWORD dst_unused:UNUSED_PAD src0_sel:WORD_1 src1_sel:DWORD
	v_fma_f16 v6, v50, v5, v6
	v_mul_f16_sdwa v5, v50, v5 dst_sel:DWORD dst_unused:UNUSED_PAD src0_sel:WORD_1 src1_sel:DWORD
	v_fma_f16 v4, v50, v4, -v5
	v_pack_b32_f16 v4, v6, v4
	ds_write_b32 v60, v4 offset:9720
	s_waitcnt vmcnt(11)
	v_lshrrev_b32_e32 v4, 16, v11
	s_waitcnt vmcnt(9)
	v_mul_f16_sdwa v5, v49, v4 dst_sel:DWORD dst_unused:UNUSED_PAD src0_sel:WORD_1 src1_sel:DWORD
	v_mul_f16_sdwa v6, v49, v11 dst_sel:DWORD dst_unused:UNUSED_PAD src0_sel:WORD_1 src1_sel:DWORD
	v_fma_f16 v5, v49, v11, v5
	v_fma_f16 v4, v49, v4, -v6
	v_pack_b32_f16 v4, v5, v4
	ds_write2_b32 v60, v1, v4 offset1:243
	s_waitcnt vmcnt(8)
	v_lshrrev_b32_e32 v1, 16, v12
	v_mul_f16_sdwa v4, v47, v1 dst_sel:DWORD dst_unused:UNUSED_PAD src0_sel:WORD_1 src1_sel:DWORD
	v_mul_f16_sdwa v5, v47, v12 dst_sel:DWORD dst_unused:UNUSED_PAD src0_sel:WORD_1 src1_sel:DWORD
	v_fma_f16 v4, v47, v12, v4
	v_fma_f16 v1, v47, v1, -v5
	v_pack_b32_f16 v1, v4, v1
	ds_write_b32 v60, v1 offset:2916
	s_waitcnt vmcnt(7)
	v_lshrrev_b32_e32 v1, 16, v15
	s_waitcnt vmcnt(5)
	v_mul_f16_sdwa v4, v46, v1 dst_sel:DWORD dst_unused:UNUSED_PAD src0_sel:WORD_1 src1_sel:DWORD
	v_mul_f16_sdwa v5, v46, v15 dst_sel:DWORD dst_unused:UNUSED_PAD src0_sel:WORD_1 src1_sel:DWORD
	v_fma_f16 v4, v46, v15, v4
	v_fma_f16 v1, v46, v1, -v5
	v_pack_b32_f16 v1, v4, v1
	ds_write_b32 v60, v1 offset:4860
	s_waitcnt vmcnt(4)
	v_lshrrev_b32_e32 v1, 16, v2
	v_mul_f16_sdwa v4, v45, v1 dst_sel:DWORD dst_unused:UNUSED_PAD src0_sel:WORD_1 src1_sel:DWORD
	v_fma_f16 v4, v45, v2, v4
	v_mul_f16_sdwa v2, v45, v2 dst_sel:DWORD dst_unused:UNUSED_PAD src0_sel:WORD_1 src1_sel:DWORD
	v_fma_f16 v1, v45, v1, -v2
	v_pack_b32_f16 v1, v4, v1
	ds_write_b32 v60, v1 offset:6804
	s_waitcnt vmcnt(3)
	v_lshrrev_b32_e32 v1, 16, v3
	s_waitcnt vmcnt(1)
	v_mul_f16_sdwa v2, v44, v1 dst_sel:DWORD dst_unused:UNUSED_PAD src0_sel:WORD_1 src1_sel:DWORD
	v_fma_f16 v2, v44, v3, v2
	v_mul_f16_sdwa v3, v44, v3 dst_sel:DWORD dst_unused:UNUSED_PAD src0_sel:WORD_1 src1_sel:DWORD
	v_fma_f16 v1, v44, v1, -v3
	v_pack_b32_f16 v1, v2, v1
	ds_write_b32 v60, v1 offset:8748
	s_waitcnt vmcnt(0)
	v_lshrrev_b32_e32 v1, 16, v0
	v_mul_f16_sdwa v2, v43, v1 dst_sel:DWORD dst_unused:UNUSED_PAD src0_sel:WORD_1 src1_sel:DWORD
	v_fma_f16 v2, v43, v0, v2
	v_mul_f16_sdwa v0, v43, v0 dst_sel:DWORD dst_unused:UNUSED_PAD src0_sel:WORD_1 src1_sel:DWORD
	v_fma_f16 v0, v43, v1, -v0
	v_pack_b32_f16 v0, v2, v0
	ds_write_b32 v60, v0 offset:10692
	s_waitcnt lgkmcnt(0)
	s_barrier
	ds_read2_b32 v[4:5], v61 offset0:12 offset1:255
	ds_read2_b32 v[6:7], v55 offset0:8 offset1:251
	ds_read2_b32 v[0:1], v60 offset1:243
	ds_read2_b32 v[9:10], v59 offset0:2 offset1:245
	ds_read2_b32 v[11:12], v53 offset0:6 offset1:249
	;; [unrolled: 1-line block ×3, first 2 shown]
	s_waitcnt lgkmcnt(4)
	v_pk_add_f16 v15, v4, v6
	v_pk_add_f16 v16, v4, v6 neg_lo:[0,1] neg_hi:[0,1]
	s_waitcnt lgkmcnt(3)
	v_pk_fma_f16 v15, v15, 0.5, v0 op_sel_hi:[1,0,1] neg_lo:[1,0,0] neg_hi:[1,0,0]
	v_pk_mul_f16 v16, v16, s0 op_sel_hi:[1,0]
	v_pk_add_f16 v19, v15, v16 op_sel:[0,1] op_sel_hi:[1,0]
	v_pk_add_f16 v20, v15, v16 op_sel:[0,1] op_sel_hi:[1,0] neg_lo:[0,1] neg_hi:[0,1]
	s_waitcnt lgkmcnt(1)
	v_pk_add_f16 v15, v9, v11
	s_waitcnt lgkmcnt(0)
	v_pk_fma_f16 v15, v15, 0.5, v2 op_sel_hi:[1,0,1] neg_lo:[1,0,0] neg_hi:[1,0,0]
	v_pk_add_f16 v16, v9, v11 neg_lo:[0,1] neg_hi:[0,1]
	v_pk_fma_f16 v17, v16, s0, v15 op_sel:[0,0,1] op_sel_hi:[1,0,0]
	v_pk_fma_f16 v15, v16, s0, v15 op_sel:[0,0,1] op_sel_hi:[1,0,0] neg_lo:[1,0,0] neg_hi:[1,0,0]
	v_lshrrev_b32_e32 v18, 16, v17
	v_bfi_b32 v16, s6, v17, v15
	v_mul_f16_e32 v17, 0x3aee, v15
	v_fma_f16 v21, v18, 0.5, v17
	v_mul_f16_e32 v17, 0xbaee, v18
	v_pk_add_f16 v0, v0, v4
	v_pk_add_f16 v2, v2, v9
	v_fma_f16 v22, v15, 0.5, v17
	v_pk_mul_f16 v15, v16, 0.5 op_sel_hi:[1,0]
	v_pk_add_f16 v0, v0, v6
	v_pk_add_f16 v2, v2, v11
	v_pk_fma_f16 v23, v16, s1, v15 op_sel:[0,0,1] op_sel_hi:[1,1,0] neg_lo:[0,0,1] neg_hi:[0,0,1]
	v_pk_add_f16 v15, v0, v2
	v_pk_add_f16 v18, v0, v2 neg_lo:[0,1] neg_hi:[0,1]
	v_bfi_b32 v0, s6, v20, v19
	v_add_f16_e32 v4, v19, v21
	v_add_f16_sdwa v6, v20, v22 dst_sel:DWORD dst_unused:UNUSED_PAD src0_sel:WORD_1 src1_sel:DWORD
	v_pk_add_f16 v17, v0, v23
	v_mul_lo_u16_e32 v0, 6, v57
	v_pack_b32_f16 v16, v4, v6
	v_lshlrev_b32_e32 v67, 2, v0
	v_pk_add_f16 v0, v1, v5
	v_pk_add_f16 v2, v5, v7
	v_pk_add_f16 v6, v5, v7 neg_lo:[0,1] neg_hi:[0,1]
	v_pack_b32_f16 v5, v22, v23
	v_pk_add_f16 v7, v0, v7
	v_sub_f16_e32 v0, v19, v21
	v_sub_f16_sdwa v4, v19, v23 dst_sel:DWORD dst_unused:UNUSED_PAD src0_sel:WORD_1 src1_sel:WORD_1
	v_pk_add_f16 v9, v20, v5 op_sel:[1,0] op_sel_hi:[0,1] neg_lo:[0,1] neg_hi:[0,1]
	v_alignbit_b32 v5, v4, v9, 16
	v_pack_b32_f16 v4, v0, v9
	v_pk_fma_f16 v1, v2, 0.5, v1 op_sel_hi:[1,0,1] neg_lo:[1,0,0] neg_hi:[1,0,0]
	v_pk_mul_f16 v2, v6, s0 op_sel_hi:[1,0]
	s_barrier
	v_mul_u32_u24_e32 v0, 6, v31
	ds_write_b64 v67, v[4:5] offset:16
	v_pk_add_f16 v4, v1, v2 op_sel:[0,1] op_sel_hi:[1,0]
	v_pk_add_f16 v5, v1, v2 op_sel:[0,1] op_sel_hi:[1,0] neg_lo:[0,1] neg_hi:[0,1]
	v_pk_add_f16 v2, v10, v12
	v_lshlrev_b32_e32 v66, 2, v0
	v_pk_add_f16 v0, v3, v10
	v_pk_fma_f16 v2, v2, 0.5, v3 op_sel_hi:[1,0,1] neg_lo:[1,0,0] neg_hi:[1,0,0]
	v_pk_add_f16 v3, v10, v12 neg_lo:[0,1] neg_hi:[0,1]
	v_pk_fma_f16 v6, v3, s0, v2 op_sel:[0,0,1] op_sel_hi:[1,0,0]
	v_pk_fma_f16 v2, v3, s0, v2 op_sel:[0,0,1] op_sel_hi:[1,0,0] neg_lo:[1,0,0] neg_hi:[1,0,0]
	v_lshrrev_b32_e32 v10, 16, v6
	v_bfi_b32 v3, s6, v6, v2
	v_mul_f16_e32 v6, 0x3aee, v2
	v_fma_f16 v6, v10, 0.5, v6
	v_mul_f16_e32 v10, 0xbaee, v10
	v_fma_f16 v10, v2, 0.5, v10
	v_pk_mul_f16 v2, v3, 0.5 op_sel_hi:[1,0]
	ds_write2_b64 v67, v[15:16], v[17:18] offset1:1
	v_pk_add_f16 v9, v0, v12
	v_bfi_b32 v1, s6, v5, v4
	v_add_f16_e32 v11, v4, v6
	v_add_f16_sdwa v12, v5, v10 dst_sel:DWORD dst_unused:UNUSED_PAD src0_sel:WORD_1 src1_sel:DWORD
	v_pk_fma_f16 v15, v3, s1, v2 op_sel:[0,0,1] op_sel_hi:[1,1,0] neg_lo:[0,0,1] neg_hi:[0,0,1]
	v_pk_add_f16 v0, v7, v9
	v_pk_add_f16 v2, v1, v15
	v_pk_add_f16 v3, v7, v9 neg_lo:[0,1] neg_hi:[0,1]
	v_pack_b32_f16 v1, v11, v12
	ds_write2_b64 v66, v[0:1], v[2:3] offset1:1
	v_pack_b32_f16 v0, v10, v15
	v_sub_f16_e32 v6, v4, v6
	v_sub_f16_sdwa v4, v4, v15 dst_sel:DWORD dst_unused:UNUSED_PAD src0_sel:WORD_1 src1_sel:WORD_1
	v_pk_add_f16 v0, v5, v0 op_sel:[1,0] op_sel_hi:[0,1] neg_lo:[0,1] neg_hi:[0,1]
	v_alignbit_b32 v1, v4, v0, 16
	v_pack_b32_f16 v0, v6, v0
	s_movk_i32 s1, 0xab
	ds_write_b64 v66, v[0:1] offset:16
	v_mul_lo_u16_sdwa v0, v57, s1 dst_sel:DWORD dst_unused:UNUSED_PAD src0_sel:BYTE_0 src1_sel:DWORD
	v_lshrrev_b16_e32 v23, 10, v0
	v_mul_lo_u16_e32 v0, 6, v23
	v_sub_u16_e32 v0, v57, v0
	v_and_b32_e32 v24, 0xff, v0
	v_mad_u64_u32 v[4:5], s[12:13], v24, 20, s[2:3]
	s_waitcnt lgkmcnt(0)
	s_barrier
	global_load_dwordx4 v[0:3], v[4:5], off
	global_load_dword v65, v[4:5], off offset:16
	ds_read2_b32 v[9:10], v61 offset0:12 offset1:255
	ds_read2_b32 v[11:12], v55 offset0:8 offset1:251
	ds_read2_b32 v[15:16], v60 offset1:243
	s_mov_b32 s1, 0xaaab
	v_mov_b32_e32 v33, s3
	s_waitcnt lgkmcnt(2)
	v_lshrrev_b32_e32 v4, 16, v9
	s_waitcnt lgkmcnt(1)
	v_lshrrev_b32_e32 v19, 16, v11
	;; [unrolled: 2-line block ×3, first 2 shown]
	v_mul_u32_u24_e32 v23, 36, v23
	v_add_lshl_u32 v69, v23, v24, 2
	s_movk_i32 s7, 0x1e6
	s_mov_b32 s13, 0xe38f
	s_movk_i32 s12, 0x2d9
	s_movk_i32 s14, 0x51
	s_load_dwordx2 s[4:5], s[4:5], 0x38
	s_waitcnt vmcnt(1)
	v_mul_f16_sdwa v5, v9, v1 dst_sel:DWORD dst_unused:UNUSED_PAD src0_sel:DWORD src1_sel:WORD_1
	v_fma_f16 v5, v4, v1, v5
	v_mul_f16_sdwa v4, v4, v1 dst_sel:DWORD dst_unused:UNUSED_PAD src0_sel:DWORD src1_sel:WORD_1
	v_fma_f16 v9, v9, v1, -v4
	v_mul_u32_u24_sdwa v4, v31, s1 dst_sel:DWORD dst_unused:UNUSED_PAD src0_sel:WORD_0 src1_sel:DWORD
	v_lshrrev_b32_e32 v29, 18, v4
	v_mul_lo_u16_e32 v4, 6, v29
	v_mul_f16_sdwa v6, v11, v3 dst_sel:DWORD dst_unused:UNUSED_PAD src0_sel:DWORD src1_sel:WORD_1
	v_sub_u16_e32 v30, v31, v4
	v_fma_f16 v6, v19, v3, v6
	v_add_f16_e32 v17, v7, v5
	v_mul_lo_u16_e32 v4, 20, v30
	v_add_f16_e32 v25, v17, v6
	v_add_co_u32_e32 v17, vcc, s2, v4
	v_sub_f16_e32 v26, v5, v6
	v_add_f16_e32 v5, v5, v6
	v_addc_co_u32_e32 v18, vcc, 0, v33, vcc
	v_fma_f16 v28, v5, -0.5, v7
	global_load_dword v68, v[17:18], off offset:16
	global_load_dwordx4 v[4:7], v[17:18], off
	v_mul_f16_sdwa v17, v19, v3 dst_sel:DWORD dst_unused:UNUSED_PAD src0_sel:DWORD src1_sel:WORD_1
	v_fma_f16 v11, v11, v3, -v17
	v_add_f16_e32 v19, v15, v9
	ds_read2_b32 v[17:18], v62 offset0:6 offset1:249
	v_add_f16_e32 v32, v19, v11
	ds_read2_b32 v[19:20], v59 offset0:2 offset1:245
	ds_read2_b32 v[21:22], v53 offset0:6 offset1:249
	v_add_f16_e32 v34, v9, v11
	v_sub_f16_e32 v9, v9, v11
	s_waitcnt lgkmcnt(0)
	v_lshrrev_b32_e32 v11, 16, v17
	v_mul_f16_sdwa v35, v17, v0 dst_sel:DWORD dst_unused:UNUSED_PAD src0_sel:DWORD src1_sel:WORD_1
	v_fma_f16 v35, v11, v0, v35
	v_lshrrev_b32_e32 v36, 16, v19
	v_mul_f16_sdwa v11, v11, v0 dst_sel:DWORD dst_unused:UNUSED_PAD src0_sel:DWORD src1_sel:WORD_1
	v_lshrrev_b32_e32 v38, 16, v21
	v_fma_f16 v11, v17, v0, -v11
	v_mul_f16_sdwa v17, v36, v2 dst_sel:DWORD dst_unused:UNUSED_PAD src0_sel:DWORD src1_sel:WORD_1
	v_mul_f16_sdwa v37, v19, v2 dst_sel:DWORD dst_unused:UNUSED_PAD src0_sel:DWORD src1_sel:WORD_1
	s_waitcnt vmcnt(2)
	v_mul_f16_sdwa v39, v21, v65 dst_sel:DWORD dst_unused:UNUSED_PAD src0_sel:DWORD src1_sel:WORD_1
	v_fma_f16 v17, v19, v2, -v17
	v_mul_f16_sdwa v19, v38, v65 dst_sel:DWORD dst_unused:UNUSED_PAD src0_sel:DWORD src1_sel:WORD_1
	v_fma_f16 v37, v36, v2, v37
	v_fma_f16 v39, v38, v65, v39
	v_fma_f16 v19, v21, v65, -v19
	v_add_f16_e32 v40, v35, v37
	v_sub_f16_e32 v41, v37, v39
	v_add_f16_e32 v37, v37, v39
	v_add_f16_e32 v21, v17, v19
	v_fma_f16 v35, v37, -0.5, v35
	v_fma_f16 v21, v21, -0.5, v11
	v_add_f16_e32 v11, v11, v17
	v_sub_f16_e32 v17, v17, v19
	s_mov_b32 s1, 0xbaee
	v_fma_f16 v36, v17, s1, v35
	v_add_f16_e32 v40, v40, v39
	v_add_f16_e32 v11, v11, v19
	v_fma_f16 v19, v41, s0, v21
	v_mul_f16_e32 v37, 0x3aee, v36
	v_fma_f16 v37, v19, 0.5, v37
	v_mul_f16_e32 v19, 0xbaee, v19
	v_add_f16_e32 v23, v32, v11
	v_add_f16_e32 v24, v25, v40
	v_fma_f16 v15, v34, -0.5, v15
	v_fma_f16 v19, v36, 0.5, v19
	v_pack_b32_f16 v23, v23, v24
	v_fma_f16 v24, v26, s0, v15
	v_fma_f16 v34, v9, s1, v28
	v_add_f16_e32 v36, v24, v37
	v_add_f16_e32 v38, v34, v19
	v_pack_b32_f16 v36, v36, v38
	v_fma_f16 v21, v41, s1, v21
	s_waitcnt vmcnt(0)
	s_barrier
	ds_write2_b32 v69, v23, v36 offset1:6
	v_fma_f16 v17, v17, s0, v35
	v_mul_f16_e32 v23, -0.5, v21
	v_fma_f16 v23, v17, s0, v23
	v_mul_f16_e32 v17, -0.5, v17
	v_fma_f16 v15, v26, s1, v15
	v_fma_f16 v9, v9, s0, v28
	;; [unrolled: 1-line block ×3, first 2 shown]
	v_sub_f16_e32 v11, v32, v11
	v_sub_f16_e32 v21, v25, v40
	v_add_f16_e32 v25, v15, v23
	v_add_f16_e32 v26, v9, v17
	v_pack_b32_f16 v25, v25, v26
	v_pack_b32_f16 v11, v11, v21
	ds_write2_b32 v69, v25, v11 offset0:12 offset1:18
	v_sub_f16_e32 v11, v24, v37
	v_sub_f16_e32 v15, v15, v23
	;; [unrolled: 1-line block ×4, first 2 shown]
	v_pack_b32_f16 v11, v11, v19
	v_pack_b32_f16 v9, v15, v9
	ds_write2_b32 v69, v11, v9 offset0:24 offset1:30
	v_lshrrev_b32_e32 v9, 16, v18
	v_lshrrev_b32_e32 v23, 16, v16
	v_mul_f16_sdwa v15, v18, v4 dst_sel:DWORD dst_unused:UNUSED_PAD src0_sel:DWORD src1_sel:WORD_1
	v_mul_f16_sdwa v11, v9, v4 dst_sel:DWORD dst_unused:UNUSED_PAD src0_sel:DWORD src1_sel:WORD_1
	v_fma_f16 v9, v9, v4, v15
	v_lshrrev_b32_e32 v15, 16, v10
	v_mul_f16_sdwa v17, v15, v5 dst_sel:DWORD dst_unused:UNUSED_PAD src0_sel:DWORD src1_sel:WORD_1
	v_fma_f16 v17, v10, v5, -v17
	v_mul_f16_sdwa v10, v10, v5 dst_sel:DWORD dst_unused:UNUSED_PAD src0_sel:DWORD src1_sel:WORD_1
	v_fma_f16 v10, v15, v5, v10
	v_lshrrev_b32_e32 v15, 16, v20
	v_mul_f16_sdwa v19, v20, v6 dst_sel:DWORD dst_unused:UNUSED_PAD src0_sel:DWORD src1_sel:WORD_1
	v_fma_f16 v11, v18, v4, -v11
	v_mul_f16_sdwa v18, v15, v6 dst_sel:DWORD dst_unused:UNUSED_PAD src0_sel:DWORD src1_sel:WORD_1
	v_fma_f16 v15, v15, v6, v19
	v_lshrrev_b32_e32 v19, 16, v12
	v_fma_f16 v18, v20, v6, -v18
	v_mul_f16_sdwa v20, v19, v7 dst_sel:DWORD dst_unused:UNUSED_PAD src0_sel:DWORD src1_sel:WORD_1
	v_fma_f16 v20, v12, v7, -v20
	v_mul_f16_sdwa v12, v12, v7 dst_sel:DWORD dst_unused:UNUSED_PAD src0_sel:DWORD src1_sel:WORD_1
	v_fma_f16 v12, v19, v7, v12
	v_lshrrev_b32_e32 v19, 16, v22
	v_mul_f16_sdwa v21, v19, v68 dst_sel:DWORD dst_unused:UNUSED_PAD src0_sel:DWORD src1_sel:WORD_1
	v_fma_f16 v21, v22, v68, -v21
	v_mul_f16_sdwa v22, v22, v68 dst_sel:DWORD dst_unused:UNUSED_PAD src0_sel:DWORD src1_sel:WORD_1
	v_fma_f16 v19, v19, v68, v22
	v_add_f16_e32 v22, v17, v20
	v_fma_f16 v22, v22, -0.5, v16
	v_add_f16_e32 v16, v16, v17
	v_add_f16_e32 v24, v23, v10
	;; [unrolled: 1-line block ×3, first 2 shown]
	v_sub_f16_e32 v25, v10, v12
	v_add_f16_e32 v10, v10, v12
	v_add_f16_e32 v12, v16, v20
	v_sub_f16_e32 v16, v17, v20
	v_add_f16_e32 v17, v9, v15
	v_sub_f16_e32 v20, v15, v19
	v_add_f16_e32 v15, v15, v19
	v_fma_f16 v9, v15, -0.5, v9
	v_add_f16_e32 v15, v18, v21
	v_fma_f16 v15, v15, -0.5, v11
	v_add_f16_e32 v11, v11, v18
	v_sub_f16_e32 v18, v18, v21
	v_add_f16_e32 v11, v11, v21
	v_fma_f16 v21, v18, s1, v9
	v_fma_f16 v10, v10, -0.5, v23
	v_add_f16_e32 v17, v17, v19
	v_fma_f16 v19, v20, s0, v15
	v_mul_f16_e32 v23, 0x3aee, v21
	v_fma_f16 v23, v19, 0.5, v23
	v_mul_f16_e32 v19, 0xbaee, v19
	v_fma_f16 v15, v20, s1, v15
	v_fma_f16 v19, v21, 0.5, v19
	v_mad_legacy_u16 v21, v29, 36, v30
	v_fma_f16 v29, v16, s1, v10
	v_fma_f16 v10, v16, s0, v10
	;; [unrolled: 1-line block ×3, first 2 shown]
	v_mul_f16_e32 v16, -0.5, v15
	v_fma_f16 v16, v9, s0, v16
	v_mul_f16_e32 v9, -0.5, v9
	v_lshlrev_b32_e32 v70, 2, v21
	v_fma_f16 v21, v25, s1, v22
	v_fma_f16 v9, v15, s1, v9
	v_add_f16_e32 v26, v12, v11
	v_add_f16_e32 v28, v24, v17
	v_sub_f16_e32 v11, v12, v11
	v_sub_f16_e32 v12, v24, v17
	v_add_f16_e32 v15, v21, v16
	v_add_f16_e32 v17, v10, v9
	v_pack_b32_f16 v26, v26, v28
	v_fma_f16 v28, v25, s0, v22
	v_pack_b32_f16 v15, v15, v17
	v_pack_b32_f16 v11, v11, v12
	ds_write2_b32 v70, v15, v11 offset0:12 offset1:18
	v_sub_f16_e32 v11, v28, v23
	v_sub_f16_e32 v12, v21, v16
	;; [unrolled: 1-line block ×4, first 2 shown]
	v_pack_b32_f16 v10, v11, v15
	v_pack_b32_f16 v9, v12, v9
	ds_write2_b32 v70, v10, v9 offset0:24 offset1:30
	v_mov_b32_e32 v9, 57
	v_mul_lo_u16_sdwa v9, v57, v9 dst_sel:DWORD dst_unused:UNUSED_PAD src0_sel:BYTE_0 src1_sel:DWORD
	v_lshrrev_b16_e32 v25, 11, v9
	v_add_f16_e32 v30, v28, v23
	v_add_f16_e32 v32, v29, v19
	v_mul_lo_u16_e32 v9, 36, v25
	v_pack_b32_f16 v30, v30, v32
	v_sub_u16_e32 v9, v57, v9
	v_add_co_u32_e32 v32, vcc, s7, v57
	ds_write2_b32 v70, v26, v30 offset1:6
	v_and_b32_e32 v26, 0xff, v9
	v_mul_u32_u24_sdwa v9, v32, s13 dst_sel:DWORD dst_unused:UNUSED_PAD src0_sel:WORD_0 src1_sel:DWORD
	v_lshrrev_b32_e32 v30, 21, v9
	v_mul_lo_u16_e32 v9, 36, v30
	v_sub_u16_e32 v36, v32, v9
	v_lshlrev_b16_e32 v9, 3, v36
	v_add_co_u32_e32 v15, vcc, s2, v9
	v_addc_co_u32_e32 v16, vcc, 0, v33, vcc
	v_add_co_u32_e32 v82, vcc, s12, v57
	v_mul_u32_u24_sdwa v9, v82, s13 dst_sel:DWORD dst_unused:UNUSED_PAD src0_sel:WORD_0 src1_sel:DWORD
	v_lshrrev_b32_e32 v37, 21, v9
	v_mul_lo_u16_e32 v9, 36, v37
	v_sub_u16_e32 v38, v82, v9
	v_lshlrev_b16_e32 v9, 3, v38
	v_add_co_u32_e32 v17, vcc, s2, v9
	s_waitcnt lgkmcnt(0)
	s_barrier
	v_addc_co_u32_e32 v18, vcc, 0, v33, vcc
	global_load_dwordx2 v[11:12], v[15:16], off offset:120
	global_load_dwordx2 v[9:10], v[17:18], off offset:120
	v_lshlrev_b32_e32 v15, 3, v26
	global_load_dwordx2 v[17:18], v15, s[2:3] offset:120
	v_mul_u32_u24_sdwa v15, v31, s13 dst_sel:DWORD dst_unused:UNUSED_PAD src0_sel:WORD_0 src1_sel:DWORD
	v_lshrrev_b32_e32 v39, 21, v15
	v_mul_lo_u16_e32 v15, 36, v39
	v_sub_u16_e32 v40, v31, v15
	v_lshlrev_b16_e32 v15, 3, v40
	v_add_co_u32_e32 v15, vcc, s2, v15
	v_addc_co_u32_e32 v16, vcc, 0, v33, vcc
	global_load_dwordx2 v[15:16], v[15:16], off offset:120
	ds_read2_b32 v[19:20], v61 offset0:12 offset1:255
	ds_read2_b32 v[21:22], v55 offset0:8 offset1:251
	ds_read2_b32 v[23:24], v60 offset1:243
	s_movk_i32 s7, 0x6c
	s_waitcnt lgkmcnt(2)
	v_lshrrev_b32_e32 v28, 16, v19
	s_waitcnt lgkmcnt(1)
	v_lshrrev_b32_e32 v34, 16, v21
	;; [unrolled: 2-line block ×3, first 2 shown]
	s_waitcnt vmcnt(1)
	v_mul_f16_sdwa v29, v19, v17 dst_sel:DWORD dst_unused:UNUSED_PAD src0_sel:DWORD src1_sel:WORD_1
	v_fma_f16 v29, v28, v17, v29
	v_mul_f16_sdwa v35, v21, v18 dst_sel:DWORD dst_unused:UNUSED_PAD src0_sel:DWORD src1_sel:WORD_1
	v_mul_f16_sdwa v28, v28, v17 dst_sel:DWORD dst_unused:UNUSED_PAD src0_sel:DWORD src1_sel:WORD_1
	v_fma_f16 v35, v34, v18, v35
	v_fma_f16 v19, v19, v17, -v28
	v_mul_f16_sdwa v28, v34, v18 dst_sel:DWORD dst_unused:UNUSED_PAD src0_sel:DWORD src1_sel:WORD_1
	v_add_f16_e32 v42, v41, v29
	v_sub_f16_e32 v72, v29, v35
	v_add_f16_e32 v29, v29, v35
	v_fma_f16 v21, v21, v18, -v28
	v_fma_f16 v41, v29, -0.5, v41
	v_add_f16_e32 v28, v23, v19
	v_add_f16_e32 v29, v19, v21
	;; [unrolled: 1-line block ×3, first 2 shown]
	v_sub_f16_e32 v19, v19, v21
	v_mul_u32_u24_e32 v21, 0x6c, v25
	v_fma_f16 v23, v29, -0.5, v23
	v_add_f16_e32 v42, v42, v35
	v_add_lshl_u32 v71, v21, v26, 2
	v_fma_f16 v25, v72, s0, v23
	v_fma_f16 v26, v19, s1, v41
	v_pack_b32_f16 v21, v28, v42
	v_pack_b32_f16 v42, v25, v26
	ds_read2_b32 v[25:26], v62 offset0:6 offset1:249
	ds_read2_b32 v[28:29], v59 offset0:2 offset1:245
	;; [unrolled: 1-line block ×3, first 2 shown]
	s_waitcnt vmcnt(0) lgkmcnt(0)
	s_barrier
	ds_write2_b32 v71, v21, v42 offset1:36
	v_lshrrev_b32_e32 v21, 16, v20
	v_mul_f16_sdwa v42, v21, v15 dst_sel:DWORD dst_unused:UNUSED_PAD src0_sel:DWORD src1_sel:WORD_1
	v_fma_f16 v42, v20, v15, -v42
	v_mul_f16_sdwa v20, v20, v15 dst_sel:DWORD dst_unused:UNUSED_PAD src0_sel:DWORD src1_sel:WORD_1
	v_fma_f16 v20, v21, v15, v20
	v_lshrrev_b32_e32 v21, 16, v22
	v_mul_f16_sdwa v73, v21, v16 dst_sel:DWORD dst_unused:UNUSED_PAD src0_sel:DWORD src1_sel:WORD_1
	v_fma_f16 v73, v22, v16, -v73
	v_mul_f16_sdwa v22, v22, v16 dst_sel:DWORD dst_unused:UNUSED_PAD src0_sel:DWORD src1_sel:WORD_1
	v_fma_f16 v21, v21, v16, v22
	v_fma_f16 v22, v72, s1, v23
	;; [unrolled: 1-line block ×3, first 2 shown]
	v_add_f16_e32 v23, v42, v73
	v_lshrrev_b32_e32 v41, 16, v24
	v_fma_f16 v23, v23, -0.5, v24
	v_add_f16_e32 v24, v24, v42
	v_add_f16_e32 v72, v41, v20
	v_sub_f16_e32 v74, v20, v21
	v_add_f16_e32 v20, v20, v21
	v_add_f16_e32 v72, v72, v21
	v_fma_f16 v20, v20, -0.5, v41
	v_add_f16_e32 v21, v24, v73
	v_sub_f16_e32 v24, v42, v73
	v_pack_b32_f16 v19, v22, v19
	ds_write_b32 v71, v19 offset:288
	v_mad_legacy_u16 v19, v39, s7, v40
	v_fma_f16 v22, v74, s0, v23
	v_fma_f16 v39, v24, s1, v20
	v_pack_b32_f16 v21, v21, v72
	v_pack_b32_f16 v22, v22, v39
	v_lshlrev_b32_e32 v72, 2, v19
	ds_write2_b32 v72, v21, v22 offset1:36
	v_fma_f16 v19, v74, s1, v23
	v_fma_f16 v20, v24, s0, v20
	v_lshrrev_b32_e32 v21, 16, v28
	v_mul_f16_sdwa v22, v28, v11 dst_sel:DWORD dst_unused:UNUSED_PAD src0_sel:DWORD src1_sel:WORD_1
	v_lshrrev_b32_e32 v23, 16, v34
	v_mul_f16_sdwa v24, v34, v12 dst_sel:DWORD dst_unused:UNUSED_PAD src0_sel:DWORD src1_sel:WORD_1
	v_fma_f16 v22, v21, v11, v22
	v_fma_f16 v24, v23, v12, v24
	v_lshrrev_b32_e32 v39, 16, v25
	v_mul_f16_sdwa v21, v21, v11 dst_sel:DWORD dst_unused:UNUSED_PAD src0_sel:DWORD src1_sel:WORD_1
	v_mul_f16_sdwa v23, v23, v12 dst_sel:DWORD dst_unused:UNUSED_PAD src0_sel:DWORD src1_sel:WORD_1
	v_add_f16_e32 v40, v39, v22
	v_fma_f16 v21, v28, v11, -v21
	v_fma_f16 v23, v34, v12, -v23
	v_add_f16_e32 v40, v40, v24
	v_sub_f16_e32 v41, v22, v24
	v_add_f16_e32 v22, v22, v24
	v_add_f16_e32 v24, v25, v21
	;; [unrolled: 1-line block ×3, first 2 shown]
	v_fma_f16 v22, v22, -0.5, v39
	v_add_f16_e32 v24, v24, v23
	v_sub_f16_e32 v21, v21, v23
	v_pack_b32_f16 v19, v19, v20
	v_fma_f16 v23, v28, -0.5, v25
	ds_write_b32 v72, v19 offset:288
	v_mad_legacy_u16 v19, v30, s7, v36
	v_pack_b32_f16 v20, v24, v40
	v_fma_f16 v24, v41, s0, v23
	v_fma_f16 v25, v21, s1, v22
	v_pack_b32_f16 v24, v24, v25
	v_lshlrev_b32_e32 v73, 2, v19
	ds_write2_b32 v73, v20, v24 offset1:36
	v_lshrrev_b32_e32 v19, 16, v29
	v_mul_f16_sdwa v24, v29, v9 dst_sel:DWORD dst_unused:UNUSED_PAD src0_sel:DWORD src1_sel:WORD_1
	v_mul_f16_sdwa v20, v19, v9 dst_sel:DWORD dst_unused:UNUSED_PAD src0_sel:DWORD src1_sel:WORD_1
	v_fma_f16 v19, v19, v9, v24
	v_lshrrev_b32_e32 v24, 16, v35
	v_mul_f16_sdwa v25, v24, v10 dst_sel:DWORD dst_unused:UNUSED_PAD src0_sel:DWORD src1_sel:WORD_1
	v_mul_f16_sdwa v28, v35, v10 dst_sel:DWORD dst_unused:UNUSED_PAD src0_sel:DWORD src1_sel:WORD_1
	v_fma_f16 v20, v29, v9, -v20
	v_fma_f16 v25, v35, v10, -v25
	v_fma_f16 v24, v24, v10, v28
	v_fma_f16 v23, v41, s1, v23
	v_fma_f16 v21, v21, s0, v22
	v_lshrrev_b32_e32 v28, 16, v26
	v_add_f16_e32 v22, v20, v25
	v_add_f16_e32 v29, v28, v19
	v_sub_f16_e32 v30, v19, v24
	v_add_f16_e32 v19, v19, v24
	v_pack_b32_f16 v21, v23, v21
	v_fma_f16 v22, v22, -0.5, v26
	v_add_f16_e32 v26, v26, v20
	v_fma_f16 v19, v19, -0.5, v28
	v_sub_f16_e32 v20, v20, v25
	ds_write_b32 v73, v21 offset:288
	v_mad_legacy_u16 v21, v37, s7, v38
	v_add_f16_e32 v29, v29, v24
	v_add_f16_e32 v24, v26, v25
	v_fma_f16 v25, v20, s1, v19
	v_lshlrev_b32_e32 v74, 2, v21
	v_fma_f16 v21, v30, s1, v22
	v_fma_f16 v19, v20, s0, v19
	v_pack_b32_f16 v19, v21, v19
	ds_write_b32 v74, v19 offset:288
	v_mov_b32_e32 v19, 19
	v_mul_lo_u16_sdwa v19, v57, v19 dst_sel:DWORD dst_unused:UNUSED_PAD src0_sel:BYTE_0 src1_sel:DWORD
	v_pack_b32_f16 v23, v24, v29
	v_fma_f16 v24, v30, s0, v22
	v_lshrrev_b16_e32 v30, 11, v19
	v_mul_lo_u16_e32 v19, 0x6c, v30
	v_sub_u16_e32 v19, v57, v19
	v_and_b32_e32 v38, 0xff, v19
	v_lshrrev_b16_e32 v19, 2, v32
	v_mul_u32_u24_e32 v19, 0x4bdb, v19
	v_lshrrev_b32_e32 v42, 19, v19
	v_mul_lo_u16_e32 v19, 0x6c, v42
	v_sub_u16_e32 v79, v32, v19
	v_pack_b32_f16 v24, v24, v25
	v_lshlrev_b16_e32 v19, 3, v79
	ds_write2_b32 v74, v23, v24 offset1:36
	v_add_co_u32_e32 v23, vcc, s2, v19
	v_lshrrev_b16_e32 v19, 2, v82
	v_mul_u32_u24_e32 v19, 0x4bdb, v19
	v_lshrrev_b32_e32 v80, 19, v19
	v_mul_lo_u16_e32 v19, 0x6c, v80
	v_sub_u16_e32 v81, v82, v19
	v_addc_co_u32_e32 v24, vcc, 0, v33, vcc
	v_lshlrev_b16_e32 v19, 3, v81
	v_add_co_u32_e32 v25, vcc, s2, v19
	s_waitcnt lgkmcnt(0)
	s_barrier
	v_addc_co_u32_e32 v26, vcc, 0, v33, vcc
	global_load_dwordx2 v[21:22], v[23:24], off offset:408
	global_load_dwordx2 v[19:20], v[25:26], off offset:408
	v_lshlrev_b32_e32 v23, 3, v38
	global_load_dwordx2 v[25:26], v23, s[2:3] offset:408
	v_lshrrev_b16_e32 v23, 2, v31
	v_mul_u32_u24_e32 v23, 0x4bdb, v23
	v_lshrrev_b32_e32 v76, 19, v23
	v_mul_lo_u16_e32 v23, 0x6c, v76
	v_sub_u16_e32 v83, v31, v23
	v_lshlrev_b16_e32 v23, 3, v83
	v_add_co_u32_e32 v23, vcc, s2, v23
	v_addc_co_u32_e32 v24, vcc, 0, v33, vcc
	global_load_dwordx2 v[23:24], v[23:24], off offset:408
	ds_read2_b32 v[28:29], v61 offset0:12 offset1:255
	ds_read2_b32 v[34:35], v55 offset0:8 offset1:251
	ds_read2_b32 v[36:37], v60 offset1:243
	v_mul_u32_u24_e32 v30, 0x144, v30
	s_movk_i32 s7, 0x144
	s_waitcnt lgkmcnt(2)
	v_lshrrev_b32_e32 v39, 16, v28
	s_waitcnt lgkmcnt(1)
	v_lshrrev_b32_e32 v41, 16, v34
	s_waitcnt lgkmcnt(0)
	v_lshrrev_b32_e32 v77, 16, v36
	s_waitcnt vmcnt(1)
	v_mul_f16_sdwa v40, v28, v25 dst_sel:DWORD dst_unused:UNUSED_PAD src0_sel:DWORD src1_sel:WORD_1
	v_fma_f16 v40, v39, v25, v40
	v_mul_f16_sdwa v75, v34, v26 dst_sel:DWORD dst_unused:UNUSED_PAD src0_sel:DWORD src1_sel:WORD_1
	v_mul_f16_sdwa v39, v39, v25 dst_sel:DWORD dst_unused:UNUSED_PAD src0_sel:DWORD src1_sel:WORD_1
	v_fma_f16 v75, v41, v26, v75
	v_fma_f16 v28, v28, v25, -v39
	v_mul_f16_sdwa v39, v41, v26 dst_sel:DWORD dst_unused:UNUSED_PAD src0_sel:DWORD src1_sel:WORD_1
	v_add_f16_e32 v78, v77, v40
	v_sub_f16_e32 v84, v40, v75
	v_add_f16_e32 v40, v40, v75
	v_fma_f16 v34, v34, v26, -v39
	v_fma_f16 v85, v40, -0.5, v77
	v_add_f16_e32 v39, v36, v28
	v_add_f16_e32 v40, v28, v34
	;; [unrolled: 1-line block ×3, first 2 shown]
	v_sub_f16_e32 v28, v28, v34
	v_fma_f16 v34, v40, -0.5, v36
	v_add_f16_e32 v78, v78, v75
	v_add_lshl_u32 v75, v30, v38, 2
	v_fma_f16 v36, v84, s0, v34
	v_fma_f16 v38, v28, s1, v85
	v_pack_b32_f16 v30, v39, v78
	v_pack_b32_f16 v36, v36, v38
	ds_read2_b32 v[38:39], v62 offset0:6 offset1:249
	ds_read2_b32 v[40:41], v59 offset0:2 offset1:245
	;; [unrolled: 1-line block ×3, first 2 shown]
	s_waitcnt vmcnt(0) lgkmcnt(0)
	s_barrier
	ds_write2_b32 v75, v30, v36 offset1:108
	v_lshrrev_b32_e32 v30, 16, v29
	v_mul_f16_sdwa v36, v30, v23 dst_sel:DWORD dst_unused:UNUSED_PAD src0_sel:DWORD src1_sel:WORD_1
	v_fma_f16 v36, v29, v23, -v36
	v_mul_f16_sdwa v29, v29, v23 dst_sel:DWORD dst_unused:UNUSED_PAD src0_sel:DWORD src1_sel:WORD_1
	v_fma_f16 v29, v30, v23, v29
	v_lshrrev_b32_e32 v30, 16, v35
	v_mul_f16_sdwa v86, v30, v24 dst_sel:DWORD dst_unused:UNUSED_PAD src0_sel:DWORD src1_sel:WORD_1
	v_fma_f16 v86, v35, v24, -v86
	v_mul_f16_sdwa v35, v35, v24 dst_sel:DWORD dst_unused:UNUSED_PAD src0_sel:DWORD src1_sel:WORD_1
	v_fma_f16 v30, v30, v24, v35
	v_fma_f16 v34, v84, s1, v34
	v_lshrrev_b32_e32 v84, 16, v37
	v_fma_f16 v28, v28, s0, v85
	v_add_f16_e32 v35, v36, v86
	v_add_f16_e32 v85, v84, v29
	v_sub_f16_e32 v87, v29, v30
	v_add_f16_e32 v29, v29, v30
	v_fma_f16 v35, v35, -0.5, v37
	v_add_f16_e32 v37, v37, v36
	v_fma_f16 v29, v29, -0.5, v84
	v_sub_f16_e32 v36, v36, v86
	v_pack_b32_f16 v28, v34, v28
	v_add_f16_e32 v85, v85, v30
	v_add_f16_e32 v30, v37, v86
	ds_write_b32 v75, v28 offset:864
	v_mad_legacy_u16 v28, v76, s7, v83
	v_fma_f16 v34, v87, s0, v35
	v_fma_f16 v37, v36, s1, v29
	v_pack_b32_f16 v30, v30, v85
	v_pack_b32_f16 v34, v34, v37
	v_lshlrev_b32_e32 v76, 2, v28
	ds_write2_b32 v76, v30, v34 offset1:108
	v_fma_f16 v28, v87, s1, v35
	v_fma_f16 v29, v36, s0, v29
	v_lshrrev_b32_e32 v30, 16, v40
	v_mul_f16_sdwa v34, v40, v21 dst_sel:DWORD dst_unused:UNUSED_PAD src0_sel:DWORD src1_sel:WORD_1
	v_lshrrev_b32_e32 v35, 16, v77
	v_mul_f16_sdwa v36, v77, v22 dst_sel:DWORD dst_unused:UNUSED_PAD src0_sel:DWORD src1_sel:WORD_1
	v_fma_f16 v34, v30, v21, v34
	v_fma_f16 v36, v35, v22, v36
	v_lshrrev_b32_e32 v37, 16, v38
	v_mul_f16_sdwa v30, v30, v21 dst_sel:DWORD dst_unused:UNUSED_PAD src0_sel:DWORD src1_sel:WORD_1
	v_mul_f16_sdwa v35, v35, v22 dst_sel:DWORD dst_unused:UNUSED_PAD src0_sel:DWORD src1_sel:WORD_1
	v_add_f16_e32 v83, v37, v34
	v_sub_f16_e32 v84, v34, v36
	v_add_f16_e32 v34, v34, v36
	v_fma_f16 v30, v40, v21, -v30
	v_fma_f16 v35, v77, v22, -v35
	v_add_f16_e32 v83, v83, v36
	v_fma_f16 v34, v34, -0.5, v37
	v_add_f16_e32 v36, v38, v30
	v_add_f16_e32 v37, v30, v35
	;; [unrolled: 1-line block ×3, first 2 shown]
	v_sub_f16_e32 v30, v30, v35
	v_pack_b32_f16 v28, v28, v29
	v_fma_f16 v35, v37, -0.5, v38
	ds_write_b32 v76, v28 offset:864
	v_mad_legacy_u16 v28, v42, s7, v79
	v_pack_b32_f16 v29, v36, v83
	v_fma_f16 v36, v84, s0, v35
	v_fma_f16 v37, v30, s1, v34
	v_pack_b32_f16 v36, v36, v37
	v_lshlrev_b32_e32 v77, 2, v28
	ds_write2_b32 v77, v29, v36 offset1:108
	v_lshrrev_b32_e32 v28, 16, v41
	v_mul_f16_sdwa v36, v41, v19 dst_sel:DWORD dst_unused:UNUSED_PAD src0_sel:DWORD src1_sel:WORD_1
	v_mul_f16_sdwa v29, v28, v19 dst_sel:DWORD dst_unused:UNUSED_PAD src0_sel:DWORD src1_sel:WORD_1
	v_fma_f16 v28, v28, v19, v36
	v_lshrrev_b32_e32 v36, 16, v78
	v_mul_f16_sdwa v37, v36, v20 dst_sel:DWORD dst_unused:UNUSED_PAD src0_sel:DWORD src1_sel:WORD_1
	v_fma_f16 v29, v41, v19, -v29
	v_fma_f16 v37, v78, v20, -v37
	v_mul_f16_sdwa v38, v78, v20 dst_sel:DWORD dst_unused:UNUSED_PAD src0_sel:DWORD src1_sel:WORD_1
	v_fma_f16 v30, v30, s0, v34
	v_add_f16_e32 v34, v29, v37
	v_fma_f16 v36, v36, v20, v38
	v_fma_f16 v38, v34, -0.5, v39
	v_lshrrev_b32_e32 v34, 16, v39
	v_fma_f16 v35, v84, s1, v35
	v_add_f16_e32 v40, v34, v28
	v_sub_f16_e32 v41, v28, v36
	v_add_f16_e32 v28, v28, v36
	v_add_f16_e32 v39, v39, v29
	v_fma_f16 v28, v28, -0.5, v34
	v_sub_f16_e32 v29, v29, v37
	v_pack_b32_f16 v30, v35, v30
	v_add_f16_e32 v40, v40, v36
	v_add_f16_e32 v34, v39, v37
	ds_write_b32 v77, v30 offset:864
	v_mad_legacy_u16 v30, v80, s7, v81
	v_fma_f16 v35, v41, s0, v38
	v_fma_f16 v36, v29, s1, v28
	s_movk_i32 s7, 0xffaf
	v_pack_b32_f16 v34, v34, v40
	v_pack_b32_f16 v35, v35, v36
	v_lshlrev_b32_e32 v78, 2, v30
	v_add_co_u32_e32 v30, vcc, s7, v57
	ds_write2_b32 v78, v34, v35 offset1:108
	v_addc_co_u32_e64 v34, s[12:13], 0, -1, vcc
	v_cmp_gt_u16_e32 vcc, s14, v57
	v_cndmask_b32_e32 v35, v34, v27, vcc
	v_fma_f16 v27, v41, s1, v38
	v_fma_f16 v28, v29, s0, v28
	v_pack_b32_f16 v27, v27, v28
	s_movk_i32 s7, 0x6523
	ds_write_b32 v78, v27 offset:864
	v_mul_u32_u24_sdwa v27, v32, s7 dst_sel:DWORD dst_unused:UNUSED_PAD src0_sel:WORD_0 src1_sel:DWORD
	v_lshrrev_b32_e32 v40, 23, v27
	v_mul_lo_u16_e32 v27, 0x144, v40
	v_sub_u16_e32 v80, v32, v27
	v_lshlrev_b16_e32 v27, 3, v80
	v_cndmask_b32_e32 v34, v30, v31, vcc
	v_add_co_u32_e32 v36, vcc, s2, v27
	v_mul_u32_u24_sdwa v27, v82, s7 dst_sel:DWORD dst_unused:UNUSED_PAD src0_sel:WORD_0 src1_sel:DWORD
	v_lshrrev_b32_e32 v27, 23, v27
	v_mul_lo_u16_e32 v27, 0x144, v27
	v_sub_u16_e32 v81, v82, v27
	v_addc_co_u32_e32 v37, vcc, 0, v33, vcc
	v_lshlrev_b16_e32 v27, 3, v81
	v_add_co_u32_e32 v38, vcc, s2, v27
	v_addc_co_u32_e32 v39, vcc, 0, v33, vcc
	s_waitcnt lgkmcnt(0)
	s_barrier
	global_load_dwordx2 v[29:30], v[36:37], off offset:1272
	global_load_dwordx2 v[27:28], v[38:39], off offset:1272
	v_lshlrev_b32_e32 v39, 3, v57
	global_load_dwordx2 v[41:42], v39, s[2:3] offset:1272
	v_lshlrev_b64 v[35:36], 3, v[34:35]
	ds_read2_b32 v[37:38], v61 offset0:12 offset1:255
	v_add_co_u32_e32 v35, vcc, s2, v35
	v_addc_co_u32_e32 v36, vcc, v33, v36, vcc
	global_load_dwordx2 v[35:36], v[35:36], off offset:1272
	s_movk_i32 s7, 0x50
	v_mov_b32_e32 v33, 0x3cc
	v_cmp_lt_u16_e32 vcc, s7, v57
	v_cndmask_b32_e32 v33, 0, v33, vcc
	v_add_lshl_u32 v79, v34, v33, 2
	s_waitcnt lgkmcnt(0)
	v_lshrrev_b32_e32 v33, 16, v37
	s_movk_i32 s7, 0x3cc
	v_lshlrev_b32_e32 v81, 2, v81
	v_lshlrev_b32_e32 v31, 3, v31
	s_waitcnt vmcnt(1)
	v_mul_f16_sdwa v34, v37, v41 dst_sel:DWORD dst_unused:UNUSED_PAD src0_sel:DWORD src1_sel:WORD_1
	v_fma_f16 v83, v33, v41, v34
	v_mul_f16_sdwa v33, v33, v41 dst_sel:DWORD dst_unused:UNUSED_PAD src0_sel:DWORD src1_sel:WORD_1
	v_fma_f16 v84, v37, v41, -v33
	ds_read2_b32 v[33:34], v55 offset0:8 offset1:251
	v_lshrrev_b32_e32 v37, 16, v38
	s_waitcnt vmcnt(0)
	v_mul_f16_sdwa v85, v37, v35 dst_sel:DWORD dst_unused:UNUSED_PAD src0_sel:DWORD src1_sel:WORD_1
	v_fma_f16 v85, v38, v35, -v85
	v_mul_f16_sdwa v38, v38, v35 dst_sel:DWORD dst_unused:UNUSED_PAD src0_sel:DWORD src1_sel:WORD_1
	v_fma_f16 v86, v37, v35, v38
	s_waitcnt lgkmcnt(0)
	v_lshrrev_b32_e32 v37, 16, v33
	v_mul_f16_sdwa v38, v33, v42 dst_sel:DWORD dst_unused:UNUSED_PAD src0_sel:DWORD src1_sel:WORD_1
	v_fma_f16 v87, v37, v42, v38
	v_mul_f16_sdwa v37, v37, v42 dst_sel:DWORD dst_unused:UNUSED_PAD src0_sel:DWORD src1_sel:WORD_1
	v_fma_f16 v88, v33, v42, -v37
	ds_read2_b32 v[37:38], v59 offset0:2 offset1:245
	v_lshrrev_b32_e32 v33, 16, v34
	v_mul_f16_sdwa v89, v33, v36 dst_sel:DWORD dst_unused:UNUSED_PAD src0_sel:DWORD src1_sel:WORD_1
	v_fma_f16 v89, v34, v36, -v89
	v_mul_f16_sdwa v34, v34, v36 dst_sel:DWORD dst_unused:UNUSED_PAD src0_sel:DWORD src1_sel:WORD_1
	v_fma_f16 v90, v33, v36, v34
	s_waitcnt lgkmcnt(0)
	v_lshrrev_b32_e32 v33, 16, v37
	v_mul_f16_sdwa v34, v37, v29 dst_sel:DWORD dst_unused:UNUSED_PAD src0_sel:DWORD src1_sel:WORD_1
	v_fma_f16 v91, v33, v29, v34
	v_mul_f16_sdwa v33, v33, v29 dst_sel:DWORD dst_unused:UNUSED_PAD src0_sel:DWORD src1_sel:WORD_1
	v_fma_f16 v92, v37, v29, -v33
	ds_read2_b32 v[33:34], v53 offset0:6 offset1:249
	v_lshrrev_b32_e32 v37, 16, v38
	v_mul_f16_sdwa v93, v37, v27 dst_sel:DWORD dst_unused:UNUSED_PAD src0_sel:DWORD src1_sel:WORD_1
	v_fma_f16 v93, v38, v27, -v93
	v_mul_f16_sdwa v38, v38, v27 dst_sel:DWORD dst_unused:UNUSED_PAD src0_sel:DWORD src1_sel:WORD_1
	v_fma_f16 v94, v37, v27, v38
	s_waitcnt lgkmcnt(0)
	v_lshrrev_b32_e32 v37, 16, v33
	v_mul_f16_sdwa v38, v33, v30 dst_sel:DWORD dst_unused:UNUSED_PAD src0_sel:DWORD src1_sel:WORD_1
	v_fma_f16 v95, v37, v30, v38
	v_mul_f16_sdwa v37, v37, v30 dst_sel:DWORD dst_unused:UNUSED_PAD src0_sel:DWORD src1_sel:WORD_1
	v_fma_f16 v96, v33, v30, -v37
	ds_read2_b32 v[37:38], v60 offset1:243
	v_lshrrev_b32_e32 v33, 16, v34
	v_mul_f16_sdwa v97, v33, v28 dst_sel:DWORD dst_unused:UNUSED_PAD src0_sel:DWORD src1_sel:WORD_1
	v_fma_f16 v97, v34, v28, -v97
	v_mul_f16_sdwa v34, v34, v28 dst_sel:DWORD dst_unused:UNUSED_PAD src0_sel:DWORD src1_sel:WORD_1
	v_fma_f16 v98, v33, v28, v34
	v_add_f16_e32 v33, v84, v88
	s_waitcnt lgkmcnt(0)
	v_fma_f16 v33, v33, -0.5, v37
	v_sub_f16_e32 v34, v83, v87
	v_fma_f16 v99, v34, s0, v33
	v_fma_f16 v100, v34, s1, v33
	v_lshrrev_b32_e32 v33, 16, v37
	v_add_f16_e32 v34, v33, v83
	v_add_f16_e32 v101, v34, v87
	;; [unrolled: 1-line block ×3, first 2 shown]
	v_fma_f16 v33, v34, -0.5, v33
	v_add_f16_e32 v34, v37, v84
	v_add_f16_e32 v37, v34, v88
	v_sub_f16_e32 v34, v84, v88
	v_fma_f16 v83, v34, s1, v33
	v_fma_f16 v84, v34, s0, v33
	v_add_f16_e32 v33, v85, v89
	v_fma_f16 v33, v33, -0.5, v38
	v_lshrrev_b32_e32 v34, 16, v38
	v_sub_f16_e32 v87, v86, v90
	v_fma_f16 v88, v87, s0, v33
	v_fma_f16 v87, v87, s1, v33
	v_add_f16_e32 v33, v34, v86
	v_add_f16_e32 v102, v33, v90
	;; [unrolled: 1-line block ×3, first 2 shown]
	v_fma_f16 v86, v33, -0.5, v34
	ds_read2_b32 v[33:34], v62 offset0:6 offset1:249
	v_add_f16_e32 v38, v38, v85
	v_sub_f16_e32 v85, v85, v89
	v_pack_b32_f16 v37, v37, v101
	v_add_f16_e32 v38, v38, v89
	v_fma_f16 v89, v85, s1, v86
	v_fma_f16 v85, v85, s0, v86
	v_add_f16_e32 v86, v92, v96
	s_waitcnt lgkmcnt(0)
	s_barrier
	ds_write_b32 v60, v37
	v_pack_b32_f16 v37, v99, v83
	v_fma_f16 v86, v86, -0.5, v33
	v_sub_f16_e32 v90, v91, v95
	ds_write_b32 v60, v37 offset:1296
	v_pack_b32_f16 v37, v100, v84
	v_fma_f16 v103, v90, s0, v86
	v_fma_f16 v86, v90, s1, v86
	v_lshrrev_b32_e32 v90, 16, v33
	ds_write_b32 v60, v37 offset:2592
	v_pack_b32_f16 v37, v38, v102
	v_add_f16_e32 v104, v90, v91
	v_add_f16_e32 v91, v91, v95
	ds_write_b32 v79, v37
	v_pack_b32_f16 v37, v88, v89
	v_fma_f16 v90, v91, -0.5, v90
	v_add_f16_e32 v33, v33, v92
	v_sub_f16_e32 v91, v92, v96
	ds_write_b32 v79, v37 offset:1296
	v_pack_b32_f16 v37, v87, v85
	v_add_f16_e32 v104, v104, v95
	v_add_f16_e32 v33, v33, v96
	v_fma_f16 v92, v91, s1, v90
	v_fma_f16 v90, v91, s0, v90
	v_add_f16_e32 v91, v93, v97
	ds_write_b32 v79, v37 offset:2592
	v_mad_legacy_u16 v37, v40, s7, v80
	v_fma_f16 v91, v91, -0.5, v34
	v_lshrrev_b32_e32 v95, 16, v34
	v_sub_f16_e32 v96, v94, v98
	v_pack_b32_f16 v33, v33, v104
	v_lshlrev_b32_e32 v80, 2, v37
	v_add_f16_e32 v34, v34, v93
	v_fma_f16 v105, v96, s0, v91
	v_fma_f16 v91, v96, s1, v91
	v_add_f16_e32 v96, v95, v94
	v_add_f16_e32 v94, v94, v98
	ds_write_b32 v80, v33
	v_pack_b32_f16 v33, v103, v92
	v_add_f16_e32 v96, v96, v98
	v_fma_f16 v94, v94, -0.5, v95
	v_add_f16_e32 v34, v34, v97
	v_sub_f16_e32 v93, v93, v97
	ds_write_b32 v80, v33 offset:1296
	v_pack_b32_f16 v33, v86, v90
	v_fma_f16 v95, v93, s1, v94
	ds_write_b32 v80, v33 offset:2592
	v_pack_b32_f16 v33, v34, v96
	v_fma_f16 v93, v93, s0, v94
	ds_write_b32 v81, v33 offset:7776
	v_pack_b32_f16 v33, v105, v95
	ds_write_b32 v81, v33 offset:9072
	v_pack_b32_f16 v33, v91, v93
	ds_write_b32 v81, v33 offset:10368
	s_waitcnt lgkmcnt(0)
	s_barrier
	global_load_dwordx2 v[39:40], v39, s[2:3] offset:3864
	ds_read2_b32 v[83:84], v61 offset0:12 offset1:255
	global_load_dwordx2 v[37:38], v31, s[2:3] offset:3864
	v_lshlrev_b32_e32 v31, 3, v32
	global_load_dwordx2 v[33:34], v31, s[2:3] offset:3864
	v_lshlrev_b32_e32 v31, 3, v82
	global_load_dwordx2 v[31:32], v31, s[2:3] offset:3864
	s_waitcnt lgkmcnt(0)
	v_lshrrev_b32_e32 v82, 16, v83
	s_movk_i32 s2, 0x2d90
	s_movk_i32 s7, 0xffe
	s_waitcnt vmcnt(3)
	v_mul_f16_sdwa v85, v83, v39 dst_sel:DWORD dst_unused:UNUSED_PAD src0_sel:DWORD src1_sel:WORD_1
	v_fma_f16 v86, v82, v39, v85
	v_mul_f16_sdwa v82, v82, v39 dst_sel:DWORD dst_unused:UNUSED_PAD src0_sel:DWORD src1_sel:WORD_1
	v_fma_f16 v87, v83, v39, -v82
	ds_read2_b32 v[82:83], v55 offset0:8 offset1:251
	v_lshrrev_b32_e32 v85, 16, v84
	s_waitcnt vmcnt(2)
	v_mul_f16_sdwa v88, v85, v37 dst_sel:DWORD dst_unused:UNUSED_PAD src0_sel:DWORD src1_sel:WORD_1
	v_fma_f16 v90, v84, v37, -v88
	v_mul_f16_sdwa v84, v84, v37 dst_sel:DWORD dst_unused:UNUSED_PAD src0_sel:DWORD src1_sel:WORD_1
	v_fma_f16 v91, v85, v37, v84
	s_waitcnt lgkmcnt(0)
	v_lshrrev_b32_e32 v84, 16, v82
	v_mul_f16_sdwa v85, v82, v40 dst_sel:DWORD dst_unused:UNUSED_PAD src0_sel:DWORD src1_sel:WORD_1
	v_fma_f16 v88, v84, v40, v85
	v_mul_f16_sdwa v84, v84, v40 dst_sel:DWORD dst_unused:UNUSED_PAD src0_sel:DWORD src1_sel:WORD_1
	v_fma_f16 v82, v82, v40, -v84
	ds_read2_b32 v[84:85], v60 offset1:243
	v_lshrrev_b32_e32 v89, 16, v83
	v_mul_f16_sdwa v92, v89, v38 dst_sel:DWORD dst_unused:UNUSED_PAD src0_sel:DWORD src1_sel:WORD_1
	v_fma_f16 v92, v83, v38, -v92
	v_mul_f16_sdwa v83, v83, v38 dst_sel:DWORD dst_unused:UNUSED_PAD src0_sel:DWORD src1_sel:WORD_1
	v_fma_f16 v83, v89, v38, v83
	v_add_f16_e32 v89, v87, v82
	s_waitcnt lgkmcnt(0)
	v_fma_f16 v89, v89, -0.5, v84
	v_sub_f16_e32 v93, v86, v88
	v_fma_f16 v94, v93, s0, v89
	v_fma_f16 v89, v93, s1, v89
	v_lshrrev_b32_e32 v93, 16, v84
	v_add_f16_e32 v95, v93, v86
	v_add_f16_e32 v86, v86, v88
	;; [unrolled: 1-line block ×3, first 2 shown]
	v_fma_f16 v86, v86, -0.5, v93
	v_add_f16_e32 v84, v84, v82
	v_sub_f16_e32 v82, v87, v82
	v_add_f16_e32 v95, v95, v88
	v_fma_f16 v87, v82, s1, v86
	v_fma_f16 v82, v82, s0, v86
	v_add_f16_e32 v86, v90, v92
	v_lshrrev_b32_e32 v96, 16, v85
	v_pack_b32_f16 v95, v84, v95
	v_pack_b32_f16 v84, v94, v87
	v_fma_f16 v93, v86, -0.5, v85
	v_add_f16_e32 v85, v85, v90
	ds_write_b32 v60, v84 offset:3888
	v_pack_b32_f16 v82, v89, v82
	v_add_f16_e32 v84, v96, v91
	ds_write_b32 v60, v82 offset:7776
	v_add_f16_e32 v82, v85, v92
	v_add_f16_e32 v84, v84, v83
	v_pack_b32_f16 v82, v82, v84
	ds_read2_b32 v[84:85], v62 offset0:6 offset1:249
	ds_read2_b32 v[86:87], v59 offset0:2 offset1:245
	;; [unrolled: 1-line block ×3, first 2 shown]
	ds_write2_b32 v60, v95, v82 offset1:243
	v_add_f16_e32 v82, v91, v83
	v_sub_f16_e32 v94, v91, v83
	v_fma_f16 v83, v82, -0.5, v96
	v_sub_f16_e32 v90, v90, v92
	v_fma_f16 v82, v94, s0, v93
	v_fma_f16 v91, v90, s1, v83
	v_pack_b32_f16 v91, v82, v91
	s_waitcnt lgkmcnt(2)
	v_lshrrev_b32_e32 v82, 16, v86
	s_waitcnt vmcnt(1)
	v_mul_f16_sdwa v92, v86, v33 dst_sel:DWORD dst_unused:UNUSED_PAD src0_sel:DWORD src1_sel:WORD_1
	v_fma_f16 v92, v82, v33, v92
	v_mul_f16_sdwa v82, v82, v33 dst_sel:DWORD dst_unused:UNUSED_PAD src0_sel:DWORD src1_sel:WORD_1
	v_fma_f16 v86, v86, v33, -v82
	s_waitcnt lgkmcnt(1)
	v_lshrrev_b32_e32 v82, 16, v88
	v_mul_f16_sdwa v95, v88, v34 dst_sel:DWORD dst_unused:UNUSED_PAD src0_sel:DWORD src1_sel:WORD_1
	v_fma_f16 v95, v82, v34, v95
	v_mul_f16_sdwa v82, v82, v34 dst_sel:DWORD dst_unused:UNUSED_PAD src0_sel:DWORD src1_sel:WORD_1
	v_fma_f16 v88, v88, v34, -v82
	v_add_f16_e32 v82, v86, v88
	v_fma_f16 v96, v82, -0.5, v84
	v_lshrrev_b32_e32 v97, 16, v84
	v_add_f16_e32 v82, v92, v95
	v_fma_f16 v98, v82, -0.5, v97
	v_sub_f16_e32 v99, v92, v95
	v_sub_f16_e32 v100, v86, v88
	v_fma_f16 v82, v99, s0, v96
	v_fma_f16 v101, v100, s1, v98
	v_pack_b32_f16 v101, v82, v101
	v_add_u32_e32 v82, 0x12e0, v60
	ds_write2_b32 v82, v91, v101 offset0:7 offset1:250
	v_fma_f16 v91, v94, s1, v93
	v_fma_f16 v83, v90, s0, v83
	;; [unrolled: 1-line block ×4, first 2 shown]
	v_pack_b32_f16 v91, v91, v83
	v_pack_b32_f16 v90, v90, v93
	v_add_u32_e32 v83, 0x2200, v60
	ds_write2_b32 v83, v91, v90 offset0:11 offset1:254
	v_lshrrev_b32_e32 v90, 16, v87
	s_waitcnt vmcnt(0)
	v_mul_f16_sdwa v91, v90, v31 dst_sel:DWORD dst_unused:UNUSED_PAD src0_sel:DWORD src1_sel:WORD_1
	v_fma_f16 v91, v87, v31, -v91
	v_mul_f16_sdwa v87, v87, v31 dst_sel:DWORD dst_unused:UNUSED_PAD src0_sel:DWORD src1_sel:WORD_1
	v_fma_f16 v87, v90, v31, v87
	v_lshrrev_b32_e32 v90, 16, v89
	v_mul_f16_sdwa v93, v90, v32 dst_sel:DWORD dst_unused:UNUSED_PAD src0_sel:DWORD src1_sel:WORD_1
	v_fma_f16 v93, v89, v32, -v93
	v_mul_f16_sdwa v89, v89, v32 dst_sel:DWORD dst_unused:UNUSED_PAD src0_sel:DWORD src1_sel:WORD_1
	v_add_f16_e32 v84, v84, v86
	v_add_f16_e32 v86, v97, v92
	v_fma_f16 v89, v90, v32, v89
	v_add_f16_e32 v84, v84, v88
	v_add_f16_e32 v86, v86, v95
	;; [unrolled: 1-line block ×3, first 2 shown]
	v_lshrrev_b32_e32 v90, 16, v85
	v_fma_f16 v88, v88, -0.5, v85
	v_add_f16_e32 v85, v85, v91
	v_pack_b32_f16 v84, v84, v86
	v_add_f16_e32 v86, v90, v87
	v_add_f16_e32 v85, v85, v93
	;; [unrolled: 1-line block ×3, first 2 shown]
	v_pack_b32_f16 v85, v85, v86
	v_add_f16_e32 v86, v87, v89
	ds_write2_b32 v62, v84, v85 offset0:6 offset1:249
	v_sub_f16_e32 v84, v87, v89
	v_fma_f16 v86, v86, -0.5, v90
	v_sub_f16_e32 v87, v91, v93
	v_fma_f16 v85, v84, s0, v88
	v_fma_f16 v84, v84, s1, v88
	;; [unrolled: 1-line block ×4, first 2 shown]
	v_pack_b32_f16 v85, v85, v88
	v_pack_b32_f16 v84, v84, v86
	ds_write_b32 v60, v85 offset:6804
	ds_write_b32 v60, v84 offset:10692
	s_waitcnt lgkmcnt(0)
	s_barrier
	global_load_dword v86, v[13:14], off offset:3472
	v_add_co_u32_e32 v13, vcc, s2, v63
	v_addc_co_u32_e32 v14, vcc, 0, v64, vcc
	global_load_dword v87, v[13:14], off offset:972
	s_movk_i32 s2, 0x4000
	v_add_co_u32_e32 v84, vcc, s2, v63
	v_addc_co_u32_e32 v85, vcc, 0, v64, vcc
	global_load_dword v88, v[84:85], off offset:1112
	global_load_dword v89, v[13:14], off offset:3888
	;; [unrolled: 1-line block ×7, first 2 shown]
	s_movk_i32 s2, 0x5000
	global_load_dword v95, v[84:85], off offset:4028
	v_add_co_u32_e32 v13, vcc, s2, v63
	v_addc_co_u32_e32 v14, vcc, 0, v64, vcc
	global_load_dword v97, v[13:14], off offset:1876
	global_load_dword v96, v[13:14], off offset:904
	ds_read2_b32 v[63:64], v60 offset1:243
	s_mov_b32 s2, 0xb8003800
	s_waitcnt lgkmcnt(0)
	v_lshrrev_b32_e32 v13, 16, v63
	s_waitcnt vmcnt(11)
	v_mul_f16_sdwa v14, v63, v86 dst_sel:DWORD dst_unused:UNUSED_PAD src0_sel:DWORD src1_sel:WORD_1
	v_fma_f16 v14, v13, v86, v14
	v_mul_f16_sdwa v13, v13, v86 dst_sel:DWORD dst_unused:UNUSED_PAD src0_sel:DWORD src1_sel:WORD_1
	v_fma_f16 v13, v63, v86, -v13
	v_pack_b32_f16 v13, v13, v14
	ds_write_b32 v60, v13
	ds_read2_b32 v[13:14], v62 offset0:6 offset1:249
	v_lshrrev_b32_e32 v63, 16, v64
	s_waitcnt vmcnt(10)
	v_mul_f16_sdwa v84, v63, v87 dst_sel:DWORD dst_unused:UNUSED_PAD src0_sel:DWORD src1_sel:WORD_1
	v_fma_f16 v84, v64, v87, -v84
	v_mul_f16_sdwa v64, v64, v87 dst_sel:DWORD dst_unused:UNUSED_PAD src0_sel:DWORD src1_sel:WORD_1
	v_fma_f16 v63, v63, v87, v64
	s_waitcnt lgkmcnt(0)
	v_lshrrev_b32_e32 v64, 16, v13
	s_waitcnt vmcnt(7)
	v_mul_f16_sdwa v85, v13, v90 dst_sel:DWORD dst_unused:UNUSED_PAD src0_sel:DWORD src1_sel:WORD_1
	v_fma_f16 v85, v64, v90, v85
	v_mul_f16_sdwa v64, v64, v90 dst_sel:DWORD dst_unused:UNUSED_PAD src0_sel:DWORD src1_sel:WORD_1
	v_fma_f16 v13, v13, v90, -v64
	v_pack_b32_f16 v13, v13, v85
	v_pack_b32_f16 v63, v84, v63
	v_add_u32_e32 v64, 0x3c0, v60
	ds_write2_b32 v64, v63, v13 offset0:3 offset1:246
	ds_read2_b32 v[63:64], v61 offset0:12 offset1:255
	v_lshrrev_b32_e32 v13, 16, v14
	s_waitcnt vmcnt(6)
	v_mul_f16_sdwa v84, v13, v91 dst_sel:DWORD dst_unused:UNUSED_PAD src0_sel:DWORD src1_sel:WORD_1
	v_fma_f16 v84, v14, v91, -v84
	v_mul_f16_sdwa v14, v14, v91 dst_sel:DWORD dst_unused:UNUSED_PAD src0_sel:DWORD src1_sel:WORD_1
	v_fma_f16 v85, v13, v91, v14
	s_waitcnt lgkmcnt(0)
	v_lshrrev_b32_e32 v13, 16, v63
	v_mul_f16_sdwa v14, v63, v89 dst_sel:DWORD dst_unused:UNUSED_PAD src0_sel:DWORD src1_sel:WORD_1
	v_fma_f16 v86, v13, v89, v14
	v_mul_f16_sdwa v13, v13, v89 dst_sel:DWORD dst_unused:UNUSED_PAD src0_sel:DWORD src1_sel:WORD_1
	v_fma_f16 v63, v63, v89, -v13
	ds_read2_b32 v[13:14], v55 offset0:8 offset1:251
	v_pack_b32_f16 v63, v63, v86
	v_pack_b32_f16 v84, v84, v85
	v_add_u32_e32 v85, 0xb40, v60
	ds_write2_b32 v85, v84, v63 offset0:9 offset1:252
	ds_read2_b32 v[84:85], v59 offset0:2 offset1:245
	s_waitcnt lgkmcnt(2)
	v_lshrrev_b32_e32 v63, 16, v13
	s_waitcnt vmcnt(5)
	v_mul_f16_sdwa v86, v13, v92 dst_sel:DWORD dst_unused:UNUSED_PAD src0_sel:DWORD src1_sel:WORD_1
	v_fma_f16 v86, v63, v92, v86
	v_mul_f16_sdwa v63, v63, v92 dst_sel:DWORD dst_unused:UNUSED_PAD src0_sel:DWORD src1_sel:WORD_1
	v_fma_f16 v13, v13, v92, -v63
	v_pack_b32_f16 v13, v13, v86
	s_waitcnt lgkmcnt(0)
	v_lshrrev_b32_e32 v63, 16, v85
	s_waitcnt vmcnt(4)
	v_mul_f16_sdwa v86, v85, v93 dst_sel:DWORD dst_unused:UNUSED_PAD src0_sel:DWORD src1_sel:WORD_1
	v_fma_f16 v86, v63, v93, v86
	v_mul_f16_sdwa v63, v63, v93 dst_sel:DWORD dst_unused:UNUSED_PAD src0_sel:DWORD src1_sel:WORD_1
	v_fma_f16 v63, v85, v93, -v63
	v_pack_b32_f16 v63, v63, v86
	v_add_u32_e32 v85, 0x1a80, v60
	ds_write2_b32 v85, v63, v13 offset0:5 offset1:248
	v_lshrrev_b32_e32 v13, 16, v84
	v_mul_f16_sdwa v63, v13, v88 dst_sel:DWORD dst_unused:UNUSED_PAD src0_sel:DWORD src1_sel:WORD_1
	v_fma_f16 v63, v84, v88, -v63
	v_mul_f16_sdwa v84, v84, v88 dst_sel:DWORD dst_unused:UNUSED_PAD src0_sel:DWORD src1_sel:WORD_1
	v_fma_f16 v13, v13, v88, v84
	v_lshrrev_b32_e32 v84, 16, v64
	s_waitcnt vmcnt(3)
	v_mul_f16_sdwa v85, v84, v94 dst_sel:DWORD dst_unused:UNUSED_PAD src0_sel:DWORD src1_sel:WORD_1
	v_fma_f16 v85, v64, v94, -v85
	v_mul_f16_sdwa v64, v64, v94 dst_sel:DWORD dst_unused:UNUSED_PAD src0_sel:DWORD src1_sel:WORD_1
	v_fma_f16 v64, v84, v94, v64
	v_pack_b32_f16 v13, v63, v13
	v_pack_b32_f16 v63, v85, v64
	ds_write2_b32 v82, v63, v13 offset0:7 offset1:250
	ds_read2_b32 v[63:64], v53 offset0:6 offset1:249
	v_lshrrev_b32_e32 v13, 16, v14
	s_waitcnt vmcnt(2)
	v_mul_f16_sdwa v84, v13, v95 dst_sel:DWORD dst_unused:UNUSED_PAD src0_sel:DWORD src1_sel:WORD_1
	v_fma_f16 v84, v14, v95, -v84
	v_mul_f16_sdwa v14, v14, v95 dst_sel:DWORD dst_unused:UNUSED_PAD src0_sel:DWORD src1_sel:WORD_1
	v_fma_f16 v13, v13, v95, v14
	s_waitcnt lgkmcnt(0)
	v_lshrrev_b32_e32 v14, 16, v63
	s_waitcnt vmcnt(0)
	v_mul_f16_sdwa v85, v63, v96 dst_sel:DWORD dst_unused:UNUSED_PAD src0_sel:DWORD src1_sel:WORD_1
	v_fma_f16 v85, v14, v96, v85
	v_mul_f16_sdwa v14, v14, v96 dst_sel:DWORD dst_unused:UNUSED_PAD src0_sel:DWORD src1_sel:WORD_1
	v_fma_f16 v14, v63, v96, -v14
	v_pack_b32_f16 v14, v14, v85
	v_pack_b32_f16 v13, v84, v13
	ds_write2_b32 v83, v13, v14 offset0:11 offset1:254
	v_lshrrev_b32_e32 v13, 16, v64
	v_mul_f16_sdwa v14, v13, v97 dst_sel:DWORD dst_unused:UNUSED_PAD src0_sel:DWORD src1_sel:WORD_1
	v_mul_f16_sdwa v63, v64, v97 dst_sel:DWORD dst_unused:UNUSED_PAD src0_sel:DWORD src1_sel:WORD_1
	v_fma_f16 v14, v64, v97, -v14
	v_fma_f16 v13, v13, v97, v63
	v_pack_b32_f16 v13, v14, v13
	ds_write_b32 v60, v13 offset:10692
	s_waitcnt lgkmcnt(0)
	s_barrier
	ds_read2_b32 v[13:14], v61 offset0:12 offset1:255
	ds_read2_b32 v[63:64], v55 offset0:8 offset1:251
	ds_read2_b32 v[84:85], v60 offset1:243
	s_waitcnt lgkmcnt(1)
	v_pk_add_f16 v86, v13, v63
	s_waitcnt lgkmcnt(0)
	v_pk_fma_f16 v92, v86, 0.5, v84 op_sel_hi:[1,0,1] neg_lo:[1,0,0] neg_hi:[1,0,0]
	ds_read2_b32 v[86:87], v59 offset0:2 offset1:245
	ds_read2_b32 v[88:89], v53 offset0:6 offset1:249
	;; [unrolled: 1-line block ×3, first 2 shown]
	v_pk_add_f16 v93, v13, v63 neg_lo:[0,1] neg_hi:[0,1]
	v_pk_fma_f16 v96, v93, s0, v92 op_sel:[0,0,1] op_sel_hi:[1,0,0] neg_lo:[1,0,0] neg_hi:[1,0,0]
	v_pk_fma_f16 v97, v93, s0, v92 op_sel:[0,0,1] op_sel_hi:[1,0,0]
	s_waitcnt lgkmcnt(1)
	v_pk_add_f16 v92, v86, v88
	s_waitcnt lgkmcnt(0)
	v_pk_fma_f16 v92, v92, 0.5, v90 op_sel_hi:[1,0,1] neg_lo:[1,0,0] neg_hi:[1,0,0]
	v_pk_add_f16 v93, v86, v88 neg_lo:[0,1] neg_hi:[0,1]
	v_pk_fma_f16 v94, v93, s0, v92 op_sel:[0,0,1] op_sel_hi:[1,0,0]
	v_pk_fma_f16 v92, v93, s0, v92 op_sel:[0,0,1] op_sel_hi:[1,0,0] neg_lo:[1,0,0] neg_hi:[1,0,0]
	v_lshrrev_b32_e32 v93, 16, v92
	v_mul_f16_e32 v95, 0xbaee, v94
	v_fma_f16 v98, v93, 0.5, v95
	v_pk_mul_f16 v93, v92, s0 op_sel_hi:[1,0]
	v_pk_add_f16 v13, v84, v13
	v_pk_fma_f16 v99, v94, s2, v93 op_sel:[0,0,1] op_sel_hi:[1,1,0]
	v_pk_fma_f16 v100, v94, s2, v93 op_sel:[0,0,1] op_sel_hi:[1,1,0] neg_lo:[0,0,1] neg_hi:[0,0,1]
	v_lshrrev_b32_e32 v93, 16, v94
	v_mul_f16_e32 v92, -0.5, v92
	v_pk_add_f16 v13, v13, v63
	v_pk_add_f16 v63, v90, v86
	v_fma_f16 v101, v93, s0, v92
	v_pk_add_f16 v63, v63, v88
	v_bfi_b32 v84, s6, v99, v100
	v_pk_add_f16 v84, v97, v84
	v_add_f16_e32 v86, v96, v101
	v_pk_add_f16 v93, v13, v63 neg_lo:[0,1] neg_hi:[0,1]
	v_pk_add_f16 v94, v13, v63
	v_add_f16_sdwa v13, v96, v98 dst_sel:DWORD dst_unused:UNUSED_PAD src0_sel:WORD_1 src1_sel:DWORD
	v_alignbit_b32 v92, v86, v84, 16
	v_pack_b32_f16 v95, v13, v84
	v_pack_b32_f16 v13, v98, v99
	v_alignbit_b32 v63, v97, v96, 16
	v_alignbit_b32 v84, v96, v97, 16
	;; [unrolled: 1-line block ×3, first 2 shown]
	s_barrier
	ds_write2_b64 v67, v[94:95], v[92:93] offset1:1
	v_pk_add_f16 v92, v63, v13 neg_lo:[0,1] neg_hi:[0,1]
	v_pk_add_f16 v93, v84, v86 neg_lo:[0,1] neg_hi:[0,1]
	v_pk_add_f16 v13, v85, v14
	ds_write_b64 v67, v[92:93] offset:16
	v_pk_add_f16 v63, v14, v64
	v_pk_add_f16 v14, v14, v64 neg_lo:[0,1] neg_hi:[0,1]
	v_pk_add_f16 v64, v13, v64
	v_pk_add_f16 v13, v91, v87
	;; [unrolled: 1-line block ×3, first 2 shown]
	v_pk_add_f16 v84, v87, v89 neg_lo:[0,1] neg_hi:[0,1]
	v_pk_add_f16 v86, v13, v89
	v_pk_fma_f16 v13, v63, 0.5, v85 op_sel_hi:[1,0,1] neg_lo:[1,0,0] neg_hi:[1,0,0]
	v_pk_fma_f16 v63, v67, 0.5, v91 op_sel_hi:[1,0,1] neg_lo:[1,0,0] neg_hi:[1,0,0]
	v_pk_fma_f16 v67, v14, s0, v13 op_sel:[0,0,1] op_sel_hi:[1,0,0] neg_lo:[1,0,0] neg_hi:[1,0,0]
	v_pk_fma_f16 v85, v14, s0, v13 op_sel:[0,0,1] op_sel_hi:[1,0,0]
	v_pk_fma_f16 v13, v84, s0, v63 op_sel:[0,0,1] op_sel_hi:[1,0,0]
	v_pk_fma_f16 v14, v84, s0, v63 op_sel:[0,0,1] op_sel_hi:[1,0,0] neg_lo:[1,0,0] neg_hi:[1,0,0]
	v_lshrrev_b32_e32 v63, 16, v14
	v_mul_f16_e32 v84, 0xbaee, v13
	v_fma_f16 v84, v63, 0.5, v84
	v_pk_mul_f16 v63, v14, s0 op_sel_hi:[1,0]
	v_pk_fma_f16 v87, v13, s2, v63 op_sel:[0,0,1] op_sel_hi:[1,1,0]
	v_pk_fma_f16 v88, v13, s2, v63 op_sel:[0,0,1] op_sel_hi:[1,1,0] neg_lo:[0,0,1] neg_hi:[0,0,1]
	v_lshrrev_b32_e32 v13, 16, v13
	v_mul_f16_e32 v14, -0.5, v14
	v_fma_f16 v89, v13, s0, v14
	v_bfi_b32 v13, s6, v87, v88
	v_pk_add_f16 v90, v85, v13
	v_add_f16_e32 v13, v67, v89
	v_pk_add_f16 v14, v64, v86 neg_lo:[0,1] neg_hi:[0,1]
	v_pk_add_f16 v63, v64, v86
	v_add_f16_sdwa v64, v67, v84 dst_sel:DWORD dst_unused:UNUSED_PAD src0_sel:WORD_1 src1_sel:DWORD
	v_alignbit_b32 v13, v13, v90, 16
	v_pack_b32_f16 v64, v64, v90
	ds_write2_b64 v66, v[63:64], v[13:14] offset1:1
	v_pack_b32_f16 v13, v84, v87
	v_alignbit_b32 v14, v85, v67, 16
	v_alignbit_b32 v63, v67, v85, 16
	;; [unrolled: 1-line block ×3, first 2 shown]
	v_pk_add_f16 v13, v14, v13 neg_lo:[0,1] neg_hi:[0,1]
	v_pk_add_f16 v14, v63, v64 neg_lo:[0,1] neg_hi:[0,1]
	ds_write_b64 v66, v[13:14] offset:16
	s_waitcnt lgkmcnt(0)
	s_barrier
	ds_read2_b32 v[13:14], v62 offset0:6 offset1:249
	ds_read2_b32 v[63:64], v61 offset0:12 offset1:255
	s_mov_b32 s2, 0xe0bf08c7
	s_mov_b32 s3, 0x3f367980
	s_movk_i32 s6, 0x1ff
	s_waitcnt lgkmcnt(1)
	v_lshrrev_b32_e32 v66, 16, v13
	v_mul_f16_sdwa v67, v0, v13 dst_sel:DWORD dst_unused:UNUSED_PAD src0_sel:WORD_1 src1_sel:DWORD
	v_fma_f16 v84, v0, v66, -v67
	v_mul_f16_sdwa v66, v0, v66 dst_sel:DWORD dst_unused:UNUSED_PAD src0_sel:WORD_1 src1_sel:DWORD
	v_fma_f16 v13, v0, v13, v66
	s_waitcnt lgkmcnt(0)
	v_lshrrev_b32_e32 v0, 16, v63
	ds_read2_b32 v[66:67], v59 offset0:2 offset1:245
	v_mul_f16_sdwa v85, v1, v63 dst_sel:DWORD dst_unused:UNUSED_PAD src0_sel:WORD_1 src1_sel:DWORD
	v_fma_f16 v85, v1, v0, -v85
	v_mul_f16_sdwa v0, v1, v0 dst_sel:DWORD dst_unused:UNUSED_PAD src0_sel:WORD_1 src1_sel:DWORD
	v_fma_f16 v63, v1, v63, v0
	ds_read2_b32 v[0:1], v55 offset0:8 offset1:251
	s_waitcnt lgkmcnt(1)
	v_lshrrev_b32_e32 v86, 16, v66
	v_mul_f16_sdwa v87, v2, v66 dst_sel:DWORD dst_unused:UNUSED_PAD src0_sel:WORD_1 src1_sel:DWORD
	v_fma_f16 v87, v2, v86, -v87
	v_mul_f16_sdwa v86, v2, v86 dst_sel:DWORD dst_unused:UNUSED_PAD src0_sel:WORD_1 src1_sel:DWORD
	v_fma_f16 v66, v2, v66, v86
	s_waitcnt lgkmcnt(0)
	v_lshrrev_b32_e32 v2, 16, v0
	v_mul_f16_sdwa v86, v3, v0 dst_sel:DWORD dst_unused:UNUSED_PAD src0_sel:WORD_1 src1_sel:DWORD
	v_fma_f16 v86, v3, v2, -v86
	v_mul_f16_sdwa v2, v3, v2 dst_sel:DWORD dst_unused:UNUSED_PAD src0_sel:WORD_1 src1_sel:DWORD
	v_fma_f16 v88, v3, v0, v2
	v_lshrrev_b32_e32 v0, 16, v14
	v_mul_f16_sdwa v2, v4, v0 dst_sel:DWORD dst_unused:UNUSED_PAD src0_sel:WORD_1 src1_sel:DWORD
	v_fma_f16 v89, v4, v14, v2
	v_mul_f16_sdwa v2, v4, v14 dst_sel:DWORD dst_unused:UNUSED_PAD src0_sel:WORD_1 src1_sel:DWORD
	v_fma_f16 v4, v4, v0, -v2
	v_lshrrev_b32_e32 v0, 16, v64
	v_mul_f16_sdwa v2, v5, v0 dst_sel:DWORD dst_unused:UNUSED_PAD src0_sel:WORD_1 src1_sel:DWORD
	v_fma_f16 v14, v5, v64, v2
	v_mul_f16_sdwa v2, v5, v64 dst_sel:DWORD dst_unused:UNUSED_PAD src0_sel:WORD_1 src1_sel:DWORD
	v_fma_f16 v5, v5, v0, -v2
	;; [unrolled: 5-line block ×3, first 2 shown]
	v_lshrrev_b32_e32 v0, 16, v1
	ds_read2_b32 v[2:3], v53 offset0:6 offset1:249
	v_mul_f16_sdwa v67, v7, v0 dst_sel:DWORD dst_unused:UNUSED_PAD src0_sel:WORD_1 src1_sel:DWORD
	v_fma_f16 v67, v7, v1, v67
	v_mul_f16_sdwa v1, v7, v1 dst_sel:DWORD dst_unused:UNUSED_PAD src0_sel:WORD_1 src1_sel:DWORD
	v_fma_f16 v7, v7, v0, -v1
	ds_read2_b32 v[0:1], v60 offset1:243
	s_waitcnt lgkmcnt(1)
	v_lshrrev_b32_e32 v90, 16, v2
	v_mul_f16_sdwa v91, v65, v2 dst_sel:DWORD dst_unused:UNUSED_PAD src0_sel:WORD_1 src1_sel:DWORD
	v_fma_f16 v91, v65, v90, -v91
	v_mul_f16_sdwa v90, v65, v90 dst_sel:DWORD dst_unused:UNUSED_PAD src0_sel:WORD_1 src1_sel:DWORD
	v_fma_f16 v2, v65, v2, v90
	s_waitcnt lgkmcnt(0)
	v_lshrrev_b32_e32 v65, 16, v0
	v_add_f16_e32 v90, v65, v85
	v_sub_f16_e32 v92, v85, v86
	v_add_f16_e32 v85, v85, v86
	v_fma_f16 v65, v85, -0.5, v65
	v_add_f16_e32 v85, v0, v63
	v_add_f16_e32 v90, v90, v86
	;; [unrolled: 1-line block ×4, first 2 shown]
	v_sub_f16_e32 v63, v63, v88
	v_add_f16_e32 v88, v84, v87
	v_sub_f16_e32 v93, v87, v91
	v_add_f16_e32 v87, v87, v91
	v_fma_f16 v84, v87, -0.5, v84
	v_add_f16_e32 v87, v66, v2
	v_fma_f16 v87, v87, -0.5, v13
	v_add_f16_e32 v13, v13, v66
	v_add_f16_e32 v13, v13, v2
	v_sub_f16_e32 v2, v66, v2
	v_add_f16_e32 v88, v88, v91
	v_fma_f16 v91, v2, s0, v84
	v_fma_f16 v66, v93, s1, v87
	v_mul_f16_e32 v94, 0xbaee, v91
	v_mul_f16_e32 v91, 0.5, v91
	v_fma_f16 v94, v66, 0.5, v94
	v_fma_f16 v66, v66, s0, v91
	v_add_f16_e32 v91, v85, v13
	v_add_f16_e32 v95, v90, v88
	v_fma_f16 v2, v2, s1, v84
	v_pack_b32_f16 v91, v91, v95
	v_fma_f16 v0, v86, -0.5, v0
	v_fma_f16 v95, v63, s0, v65
	v_fma_f16 v63, v63, s1, v65
	;; [unrolled: 1-line block ×3, first 2 shown]
	v_mul_f16_e32 v84, 0xbaee, v2
	v_mul_f16_e32 v2, -0.5, v2
	v_fma_f16 v86, v92, s1, v0
	v_fma_f16 v0, v92, s0, v0
	v_fma_f16 v84, v65, -0.5, v84
	v_fma_f16 v2, v65, s0, v2
	v_sub_f16_e32 v13, v85, v13
	v_sub_f16_e32 v65, v90, v88
	v_add_f16_e32 v85, v0, v84
	v_add_f16_e32 v87, v63, v2
	v_pack_b32_f16 v85, v85, v87
	v_pack_b32_f16 v13, v13, v65
	s_barrier
	ds_write2_b32 v69, v85, v13 offset0:12 offset1:18
	v_sub_f16_e32 v13, v86, v94
	v_sub_f16_e32 v0, v0, v84
	;; [unrolled: 1-line block ×4, first 2 shown]
	v_pack_b32_f16 v13, v13, v65
	v_pack_b32_f16 v0, v0, v2
	ds_write2_b32 v69, v13, v0 offset0:24 offset1:30
	v_lshrrev_b32_e32 v0, 16, v3
	v_mul_f16_sdwa v2, v68, v0 dst_sel:DWORD dst_unused:UNUSED_PAD src0_sel:WORD_1 src1_sel:DWORD
	v_lshrrev_b32_e32 v13, 16, v1
	v_fma_f16 v2, v68, v3, v2
	v_mul_f16_sdwa v3, v68, v3 dst_sel:DWORD dst_unused:UNUSED_PAD src0_sel:WORD_1 src1_sel:DWORD
	v_add_f16_e32 v63, v13, v5
	v_sub_f16_e32 v65, v5, v7
	v_add_f16_e32 v5, v5, v7
	v_fma_f16 v0, v68, v0, -v3
	v_add_f16_e32 v3, v14, v67
	v_fma_f16 v5, v5, -0.5, v13
	v_add_f16_e32 v13, v4, v6
	v_fma_f16 v3, v3, -0.5, v1
	v_add_f16_e32 v1, v1, v14
	v_add_f16_e32 v63, v63, v7
	v_sub_f16_e32 v7, v14, v67
	v_add_f16_e32 v13, v13, v0
	v_sub_f16_e32 v14, v6, v0
	v_add_f16_e32 v0, v6, v0
	v_add_f16_e32 v6, v89, v64
	v_fma_f16 v0, v0, -0.5, v4
	v_add_f16_e32 v4, v64, v2
	v_add_f16_e32 v6, v6, v2
	v_sub_f16_e32 v2, v64, v2
	v_add_f16_e32 v97, v95, v66
	v_fma_f16 v4, v4, -0.5, v89
	v_fma_f16 v66, v2, s0, v0
	v_add_f16_e32 v96, v86, v94
	v_add_f16_e32 v1, v1, v67
	v_fma_f16 v64, v14, s1, v4
	v_mul_f16_e32 v67, 0xbaee, v66
	v_mul_f16_e32 v66, 0.5, v66
	v_fma_f16 v0, v2, s1, v0
	v_pack_b32_f16 v96, v96, v97
	v_fma_f16 v67, v64, 0.5, v67
	v_fma_f16 v64, v64, s0, v66
	v_add_f16_e32 v66, v1, v6
	v_add_f16_e32 v68, v63, v13
	v_fma_f16 v4, v14, s0, v4
	v_mul_f16_e32 v2, 0xbaee, v0
	v_mul_f16_e32 v0, -0.5, v0
	ds_write2_b32 v69, v91, v96 offset1:6
	v_pack_b32_f16 v66, v66, v68
	v_fma_f16 v68, v65, s1, v3
	v_fma_f16 v69, v7, s0, v5
	;; [unrolled: 1-line block ×4, first 2 shown]
	v_fma_f16 v2, v4, -0.5, v2
	v_fma_f16 v0, v4, s0, v0
	v_sub_f16_e32 v1, v1, v6
	v_sub_f16_e32 v4, v63, v13
	v_add_f16_e32 v6, v3, v2
	v_add_f16_e32 v7, v5, v0
	v_pack_b32_f16 v6, v6, v7
	v_pack_b32_f16 v1, v1, v4
	v_add_f16_e32 v84, v68, v67
	v_add_f16_e32 v85, v69, v64
	ds_write2_b32 v70, v6, v1 offset0:12 offset1:18
	v_sub_f16_e32 v1, v68, v67
	v_sub_f16_e32 v2, v3, v2
	;; [unrolled: 1-line block ×4, first 2 shown]
	v_pack_b32_f16 v84, v84, v85
	v_pack_b32_f16 v1, v1, v3
	;; [unrolled: 1-line block ×3, first 2 shown]
	ds_write2_b32 v70, v66, v84 offset1:6
	ds_write2_b32 v70, v1, v0 offset0:24 offset1:30
	s_waitcnt lgkmcnt(0)
	s_barrier
	ds_read2_b32 v[0:1], v61 offset0:12 offset1:255
	ds_read2_b32 v[2:3], v55 offset0:8 offset1:251
	s_waitcnt lgkmcnt(1)
	v_lshrrev_b32_e32 v4, 16, v0
	v_mul_f16_sdwa v5, v17, v0 dst_sel:DWORD dst_unused:UNUSED_PAD src0_sel:WORD_1 src1_sel:DWORD
	v_fma_f16 v5, v17, v4, -v5
	v_mul_f16_sdwa v4, v17, v4 dst_sel:DWORD dst_unused:UNUSED_PAD src0_sel:WORD_1 src1_sel:DWORD
	v_fma_f16 v4, v17, v0, v4
	s_waitcnt lgkmcnt(0)
	v_lshrrev_b32_e32 v0, 16, v2
	v_mul_f16_sdwa v6, v18, v2 dst_sel:DWORD dst_unused:UNUSED_PAD src0_sel:WORD_1 src1_sel:DWORD
	v_fma_f16 v6, v18, v0, -v6
	v_mul_f16_sdwa v0, v18, v0 dst_sel:DWORD dst_unused:UNUSED_PAD src0_sel:WORD_1 src1_sel:DWORD
	v_fma_f16 v7, v18, v2, v0
	v_lshrrev_b32_e32 v0, 16, v1
	v_mul_f16_sdwa v2, v15, v0 dst_sel:DWORD dst_unused:UNUSED_PAD src0_sel:WORD_1 src1_sel:DWORD
	v_fma_f16 v13, v15, v1, v2
	v_mul_f16_sdwa v1, v15, v1 dst_sel:DWORD dst_unused:UNUSED_PAD src0_sel:WORD_1 src1_sel:DWORD
	v_lshrrev_b32_e32 v2, 16, v3
	v_fma_f16 v14, v15, v0, -v1
	ds_read2_b32 v[0:1], v59 offset0:2 offset1:245
	v_mul_f16_sdwa v15, v16, v2 dst_sel:DWORD dst_unused:UNUSED_PAD src0_sel:WORD_1 src1_sel:DWORD
	v_fma_f16 v15, v16, v3, v15
	v_mul_f16_sdwa v3, v16, v3 dst_sel:DWORD dst_unused:UNUSED_PAD src0_sel:WORD_1 src1_sel:DWORD
	v_fma_f16 v16, v16, v2, -v3
	ds_read2_b32 v[2:3], v53 offset0:6 offset1:249
	s_waitcnt lgkmcnt(1)
	v_lshrrev_b32_e32 v17, 16, v0
	v_mul_f16_sdwa v18, v11, v0 dst_sel:DWORD dst_unused:UNUSED_PAD src0_sel:WORD_1 src1_sel:DWORD
	v_fma_f16 v18, v11, v17, -v18
	v_mul_f16_sdwa v17, v11, v17 dst_sel:DWORD dst_unused:UNUSED_PAD src0_sel:WORD_1 src1_sel:DWORD
	v_fma_f16 v11, v11, v0, v17
	s_waitcnt lgkmcnt(0)
	v_lshrrev_b32_e32 v0, 16, v2
	v_mul_f16_sdwa v17, v12, v2 dst_sel:DWORD dst_unused:UNUSED_PAD src0_sel:WORD_1 src1_sel:DWORD
	v_fma_f16 v17, v12, v0, -v17
	v_mul_f16_sdwa v0, v12, v0 dst_sel:DWORD dst_unused:UNUSED_PAD src0_sel:WORD_1 src1_sel:DWORD
	v_fma_f16 v12, v12, v2, v0
	v_lshrrev_b32_e32 v0, 16, v1
	v_mul_f16_sdwa v2, v9, v0 dst_sel:DWORD dst_unused:UNUSED_PAD src0_sel:WORD_1 src1_sel:DWORD
	v_fma_f16 v63, v9, v1, v2
	v_mul_f16_sdwa v1, v9, v1 dst_sel:DWORD dst_unused:UNUSED_PAD src0_sel:WORD_1 src1_sel:DWORD
	v_fma_f16 v9, v9, v0, -v1
	ds_read2_b32 v[0:1], v60 offset1:243
	v_lshrrev_b32_e32 v2, 16, v3
	v_mul_f16_sdwa v64, v10, v2 dst_sel:DWORD dst_unused:UNUSED_PAD src0_sel:WORD_1 src1_sel:DWORD
	v_fma_f16 v64, v10, v3, v64
	v_mul_f16_sdwa v3, v10, v3 dst_sel:DWORD dst_unused:UNUSED_PAD src0_sel:WORD_1 src1_sel:DWORD
	v_fma_f16 v10, v10, v2, -v3
	s_waitcnt lgkmcnt(0)
	v_lshrrev_b32_e32 v2, 16, v0
	v_add_f16_e32 v3, v2, v5
	v_sub_f16_e32 v65, v5, v6
	v_add_f16_e32 v5, v5, v6
	v_add_f16_e32 v3, v3, v6
	v_fma_f16 v5, v5, -0.5, v2
	v_add_f16_e32 v2, v0, v4
	v_add_f16_e32 v6, v4, v7
	;; [unrolled: 1-line block ×3, first 2 shown]
	v_sub_f16_e32 v4, v4, v7
	v_fma_f16 v0, v6, -0.5, v0
	v_pack_b32_f16 v7, v2, v3
	v_fma_f16 v2, v65, s1, v0
	v_fma_f16 v3, v4, s0, v5
	;; [unrolled: 1-line block ×4, first 2 shown]
	v_pack_b32_f16 v0, v0, v4
	v_pack_b32_f16 v6, v2, v3
	ds_read2_b32 v[2:3], v62 offset0:6 offset1:249
	s_waitcnt lgkmcnt(0)
	s_barrier
	ds_write_b32 v71, v0 offset:288
	v_add_f16_e32 v0, v13, v15
	v_lshrrev_b32_e32 v4, 16, v1
	ds_write2_b32 v71, v7, v6 offset1:36
	v_fma_f16 v0, v0, -0.5, v1
	v_add_f16_e32 v1, v1, v13
	v_add_f16_e32 v5, v4, v14
	;; [unrolled: 1-line block ×4, first 2 shown]
	v_sub_f16_e32 v6, v14, v16
	v_fma_f16 v4, v7, -0.5, v4
	v_add_f16_e32 v1, v1, v15
	v_sub_f16_e32 v7, v13, v15
	v_pack_b32_f16 v1, v1, v5
	v_fma_f16 v5, v6, s1, v0
	v_fma_f16 v13, v7, s0, v4
	v_pack_b32_f16 v5, v5, v13
	ds_write2_b32 v72, v1, v5 offset1:36
	v_fma_f16 v0, v6, s0, v0
	v_fma_f16 v1, v7, s1, v4
	v_pack_b32_f16 v0, v0, v1
	ds_write_b32 v72, v0 offset:288
	v_lshrrev_b32_e32 v0, 16, v2
	v_add_f16_e32 v5, v18, v17
	v_add_f16_e32 v1, v0, v18
	v_fma_f16 v0, v5, -0.5, v0
	v_add_f16_e32 v5, v2, v11
	v_add_f16_e32 v6, v11, v12
	;; [unrolled: 1-line block ×3, first 2 shown]
	v_sub_f16_e32 v4, v18, v17
	v_add_f16_e32 v5, v5, v12
	v_sub_f16_e32 v7, v11, v12
	v_fma_f16 v2, v6, -0.5, v2
	v_pack_b32_f16 v1, v5, v1
	v_fma_f16 v5, v4, s1, v2
	v_fma_f16 v6, v7, s0, v0
	v_pack_b32_f16 v5, v5, v6
	ds_write2_b32 v73, v1, v5 offset1:36
	v_fma_f16 v1, v4, s0, v2
	v_fma_f16 v0, v7, s1, v0
	v_pack_b32_f16 v0, v1, v0
	ds_write_b32 v73, v0 offset:288
	v_add_f16_e32 v0, v63, v64
	v_lshrrev_b32_e32 v1, 16, v3
	v_fma_f16 v0, v0, -0.5, v3
	v_add_f16_e32 v2, v3, v63
	v_add_f16_e32 v3, v1, v9
	;; [unrolled: 1-line block ×4, first 2 shown]
	v_sub_f16_e32 v4, v9, v10
	v_fma_f16 v1, v5, -0.5, v1
	v_add_f16_e32 v2, v2, v64
	v_sub_f16_e32 v5, v63, v64
	v_pack_b32_f16 v2, v2, v3
	v_fma_f16 v3, v4, s1, v0
	v_fma_f16 v6, v5, s0, v1
	;; [unrolled: 1-line block ×4, first 2 shown]
	v_pack_b32_f16 v3, v3, v6
	v_pack_b32_f16 v0, v0, v1
	ds_write2_b32 v74, v2, v3 offset1:36
	ds_write_b32 v74, v0 offset:288
	s_waitcnt lgkmcnt(0)
	s_barrier
	ds_read2_b32 v[0:1], v61 offset0:12 offset1:255
	ds_read2_b32 v[2:3], v55 offset0:8 offset1:251
	s_waitcnt lgkmcnt(1)
	v_lshrrev_b32_e32 v4, 16, v0
	v_mul_f16_sdwa v5, v25, v0 dst_sel:DWORD dst_unused:UNUSED_PAD src0_sel:WORD_1 src1_sel:DWORD
	v_fma_f16 v5, v25, v4, -v5
	v_mul_f16_sdwa v4, v25, v4 dst_sel:DWORD dst_unused:UNUSED_PAD src0_sel:WORD_1 src1_sel:DWORD
	v_fma_f16 v4, v25, v0, v4
	s_waitcnt lgkmcnt(0)
	v_lshrrev_b32_e32 v0, 16, v2
	v_mul_f16_sdwa v6, v26, v2 dst_sel:DWORD dst_unused:UNUSED_PAD src0_sel:WORD_1 src1_sel:DWORD
	v_fma_f16 v6, v26, v0, -v6
	v_mul_f16_sdwa v0, v26, v0 dst_sel:DWORD dst_unused:UNUSED_PAD src0_sel:WORD_1 src1_sel:DWORD
	v_fma_f16 v7, v26, v2, v0
	v_lshrrev_b32_e32 v0, 16, v1
	v_mul_f16_sdwa v2, v23, v0 dst_sel:DWORD dst_unused:UNUSED_PAD src0_sel:WORD_1 src1_sel:DWORD
	v_fma_f16 v9, v23, v1, v2
	v_mul_f16_sdwa v1, v23, v1 dst_sel:DWORD dst_unused:UNUSED_PAD src0_sel:WORD_1 src1_sel:DWORD
	v_lshrrev_b32_e32 v2, 16, v3
	v_fma_f16 v10, v23, v0, -v1
	ds_read2_b32 v[0:1], v59 offset0:2 offset1:245
	v_mul_f16_sdwa v11, v24, v2 dst_sel:DWORD dst_unused:UNUSED_PAD src0_sel:WORD_1 src1_sel:DWORD
	v_fma_f16 v11, v24, v3, v11
	v_mul_f16_sdwa v3, v24, v3 dst_sel:DWORD dst_unused:UNUSED_PAD src0_sel:WORD_1 src1_sel:DWORD
	v_fma_f16 v12, v24, v2, -v3
	ds_read2_b32 v[2:3], v53 offset0:6 offset1:249
	s_waitcnt lgkmcnt(1)
	v_lshrrev_b32_e32 v13, 16, v0
	v_mul_f16_sdwa v14, v21, v0 dst_sel:DWORD dst_unused:UNUSED_PAD src0_sel:WORD_1 src1_sel:DWORD
	v_fma_f16 v14, v21, v13, -v14
	v_mul_f16_sdwa v13, v21, v13 dst_sel:DWORD dst_unused:UNUSED_PAD src0_sel:WORD_1 src1_sel:DWORD
	v_fma_f16 v13, v21, v0, v13
	s_waitcnt lgkmcnt(0)
	v_lshrrev_b32_e32 v0, 16, v2
	v_mul_f16_sdwa v15, v22, v2 dst_sel:DWORD dst_unused:UNUSED_PAD src0_sel:WORD_1 src1_sel:DWORD
	v_fma_f16 v15, v22, v0, -v15
	v_mul_f16_sdwa v0, v22, v0 dst_sel:DWORD dst_unused:UNUSED_PAD src0_sel:WORD_1 src1_sel:DWORD
	v_fma_f16 v16, v22, v2, v0
	v_lshrrev_b32_e32 v0, 16, v1
	v_mul_f16_sdwa v2, v19, v0 dst_sel:DWORD dst_unused:UNUSED_PAD src0_sel:WORD_1 src1_sel:DWORD
	v_fma_f16 v17, v19, v1, v2
	v_mul_f16_sdwa v1, v19, v1 dst_sel:DWORD dst_unused:UNUSED_PAD src0_sel:WORD_1 src1_sel:DWORD
	v_fma_f16 v18, v19, v0, -v1
	ds_read2_b32 v[0:1], v60 offset1:243
	v_lshrrev_b32_e32 v2, 16, v3
	v_mul_f16_sdwa v19, v20, v2 dst_sel:DWORD dst_unused:UNUSED_PAD src0_sel:WORD_1 src1_sel:DWORD
	v_fma_f16 v19, v20, v3, v19
	v_mul_f16_sdwa v3, v20, v3 dst_sel:DWORD dst_unused:UNUSED_PAD src0_sel:WORD_1 src1_sel:DWORD
	v_fma_f16 v20, v20, v2, -v3
	s_waitcnt lgkmcnt(0)
	v_lshrrev_b32_e32 v2, 16, v0
	v_add_f16_e32 v3, v2, v5
	v_sub_f16_e32 v21, v5, v6
	v_add_f16_e32 v5, v5, v6
	v_add_f16_e32 v3, v3, v6
	v_fma_f16 v5, v5, -0.5, v2
	v_add_f16_e32 v2, v0, v4
	v_add_f16_e32 v6, v4, v7
	;; [unrolled: 1-line block ×3, first 2 shown]
	v_sub_f16_e32 v4, v4, v7
	v_fma_f16 v0, v6, -0.5, v0
	v_pack_b32_f16 v7, v2, v3
	v_fma_f16 v2, v21, s1, v0
	v_fma_f16 v3, v4, s0, v5
	;; [unrolled: 1-line block ×4, first 2 shown]
	v_pack_b32_f16 v0, v0, v4
	v_pack_b32_f16 v6, v2, v3
	ds_read2_b32 v[2:3], v62 offset0:6 offset1:249
	s_waitcnt lgkmcnt(0)
	s_barrier
	ds_write_b32 v75, v0 offset:864
	v_add_f16_e32 v0, v9, v11
	v_lshrrev_b32_e32 v4, 16, v1
	ds_write2_b32 v75, v7, v6 offset1:108
	v_fma_f16 v0, v0, -0.5, v1
	v_add_f16_e32 v1, v1, v9
	v_add_f16_e32 v5, v4, v10
	;; [unrolled: 1-line block ×4, first 2 shown]
	v_sub_f16_e32 v6, v10, v12
	v_fma_f16 v4, v7, -0.5, v4
	v_add_f16_e32 v1, v1, v11
	v_sub_f16_e32 v7, v9, v11
	v_pack_b32_f16 v1, v1, v5
	v_fma_f16 v5, v6, s1, v0
	v_fma_f16 v9, v7, s0, v4
	v_pack_b32_f16 v5, v5, v9
	ds_write2_b32 v76, v1, v5 offset1:108
	v_fma_f16 v0, v6, s0, v0
	v_fma_f16 v1, v7, s1, v4
	v_pack_b32_f16 v0, v0, v1
	ds_write_b32 v76, v0 offset:864
	v_lshrrev_b32_e32 v0, 16, v2
	v_add_f16_e32 v5, v14, v15
	v_add_f16_e32 v1, v0, v14
	v_fma_f16 v0, v5, -0.5, v0
	v_add_f16_e32 v5, v2, v13
	v_add_f16_e32 v6, v13, v16
	;; [unrolled: 1-line block ×3, first 2 shown]
	v_sub_f16_e32 v4, v14, v15
	v_add_f16_e32 v5, v5, v16
	v_sub_f16_e32 v7, v13, v16
	v_fma_f16 v2, v6, -0.5, v2
	v_pack_b32_f16 v1, v5, v1
	v_fma_f16 v5, v4, s1, v2
	v_fma_f16 v6, v7, s0, v0
	v_pack_b32_f16 v5, v5, v6
	ds_write2_b32 v77, v1, v5 offset1:108
	v_fma_f16 v1, v4, s0, v2
	v_fma_f16 v0, v7, s1, v0
	v_pack_b32_f16 v0, v1, v0
	ds_write_b32 v77, v0 offset:864
	v_add_f16_e32 v0, v17, v19
	v_lshrrev_b32_e32 v1, 16, v3
	v_fma_f16 v0, v0, -0.5, v3
	v_add_f16_e32 v2, v3, v17
	v_add_f16_e32 v3, v1, v18
	;; [unrolled: 1-line block ×4, first 2 shown]
	v_sub_f16_e32 v4, v18, v20
	v_fma_f16 v1, v5, -0.5, v1
	v_add_f16_e32 v2, v2, v19
	v_sub_f16_e32 v5, v17, v19
	v_pack_b32_f16 v2, v2, v3
	v_fma_f16 v3, v4, s1, v0
	v_fma_f16 v6, v5, s0, v1
	v_fma_f16 v0, v4, s0, v0
	v_fma_f16 v1, v5, s1, v1
	v_pack_b32_f16 v3, v3, v6
	v_pack_b32_f16 v0, v0, v1
	ds_write2_b32 v78, v2, v3 offset1:108
	ds_write_b32 v78, v0 offset:864
	s_waitcnt lgkmcnt(0)
	s_barrier
	ds_read2_b32 v[0:1], v61 offset0:12 offset1:255
	ds_read2_b32 v[2:3], v55 offset0:8 offset1:251
	s_waitcnt lgkmcnt(1)
	v_lshrrev_b32_e32 v4, 16, v0
	v_mul_f16_sdwa v5, v41, v0 dst_sel:DWORD dst_unused:UNUSED_PAD src0_sel:WORD_1 src1_sel:DWORD
	v_fma_f16 v5, v41, v4, -v5
	v_mul_f16_sdwa v4, v41, v4 dst_sel:DWORD dst_unused:UNUSED_PAD src0_sel:WORD_1 src1_sel:DWORD
	v_fma_f16 v4, v41, v0, v4
	s_waitcnt lgkmcnt(0)
	v_lshrrev_b32_e32 v0, 16, v2
	v_mul_f16_sdwa v6, v42, v2 dst_sel:DWORD dst_unused:UNUSED_PAD src0_sel:WORD_1 src1_sel:DWORD
	v_fma_f16 v6, v42, v0, -v6
	v_mul_f16_sdwa v0, v42, v0 dst_sel:DWORD dst_unused:UNUSED_PAD src0_sel:WORD_1 src1_sel:DWORD
	v_fma_f16 v7, v42, v2, v0
	v_lshrrev_b32_e32 v0, 16, v1
	v_mul_f16_sdwa v2, v35, v0 dst_sel:DWORD dst_unused:UNUSED_PAD src0_sel:WORD_1 src1_sel:DWORD
	v_fma_f16 v9, v35, v1, v2
	v_mul_f16_sdwa v1, v35, v1 dst_sel:DWORD dst_unused:UNUSED_PAD src0_sel:WORD_1 src1_sel:DWORD
	v_lshrrev_b32_e32 v2, 16, v3
	v_fma_f16 v10, v35, v0, -v1
	ds_read2_b32 v[0:1], v59 offset0:2 offset1:245
	v_mul_f16_sdwa v11, v36, v2 dst_sel:DWORD dst_unused:UNUSED_PAD src0_sel:WORD_1 src1_sel:DWORD
	v_fma_f16 v11, v36, v3, v11
	v_mul_f16_sdwa v3, v36, v3 dst_sel:DWORD dst_unused:UNUSED_PAD src0_sel:WORD_1 src1_sel:DWORD
	v_fma_f16 v12, v36, v2, -v3
	ds_read2_b32 v[2:3], v53 offset0:6 offset1:249
	s_waitcnt lgkmcnt(1)
	v_lshrrev_b32_e32 v13, 16, v0
	v_mul_f16_sdwa v14, v29, v0 dst_sel:DWORD dst_unused:UNUSED_PAD src0_sel:WORD_1 src1_sel:DWORD
	v_fma_f16 v14, v29, v13, -v14
	v_mul_f16_sdwa v13, v29, v13 dst_sel:DWORD dst_unused:UNUSED_PAD src0_sel:WORD_1 src1_sel:DWORD
	v_fma_f16 v13, v29, v0, v13
	s_waitcnt lgkmcnt(0)
	v_lshrrev_b32_e32 v0, 16, v2
	v_mul_f16_sdwa v15, v30, v2 dst_sel:DWORD dst_unused:UNUSED_PAD src0_sel:WORD_1 src1_sel:DWORD
	v_fma_f16 v15, v30, v0, -v15
	v_mul_f16_sdwa v0, v30, v0 dst_sel:DWORD dst_unused:UNUSED_PAD src0_sel:WORD_1 src1_sel:DWORD
	v_fma_f16 v2, v30, v2, v0
	v_lshrrev_b32_e32 v0, 16, v1
	v_mul_f16_sdwa v16, v27, v0 dst_sel:DWORD dst_unused:UNUSED_PAD src0_sel:WORD_1 src1_sel:DWORD
	v_fma_f16 v16, v27, v1, v16
	v_mul_f16_sdwa v1, v27, v1 dst_sel:DWORD dst_unused:UNUSED_PAD src0_sel:WORD_1 src1_sel:DWORD
	v_fma_f16 v17, v27, v0, -v1
	ds_read2_b32 v[0:1], v60 offset1:243
	v_lshrrev_b32_e32 v18, 16, v3
	v_mul_f16_sdwa v19, v28, v18 dst_sel:DWORD dst_unused:UNUSED_PAD src0_sel:WORD_1 src1_sel:DWORD
	v_fma_f16 v19, v28, v3, v19
	v_mul_f16_sdwa v3, v28, v3 dst_sel:DWORD dst_unused:UNUSED_PAD src0_sel:WORD_1 src1_sel:DWORD
	v_fma_f16 v3, v28, v18, -v3
	v_add_f16_e32 v18, v4, v7
	s_waitcnt lgkmcnt(0)
	v_fma_f16 v18, v18, -0.5, v0
	v_sub_f16_e32 v20, v5, v6
	v_fma_f16 v21, v20, s1, v18
	v_fma_f16 v18, v20, s0, v18
	v_lshrrev_b32_e32 v20, 16, v0
	v_add_f16_e32 v22, v20, v5
	v_add_f16_e32 v5, v5, v6
	v_fma_f16 v5, v5, -0.5, v20
	v_add_f16_e32 v0, v0, v4
	v_sub_f16_e32 v4, v4, v7
	v_add_f16_e32 v22, v22, v6
	v_fma_f16 v6, v4, s0, v5
	v_fma_f16 v4, v4, s1, v5
	v_add_f16_e32 v5, v9, v11
	v_add_f16_e32 v0, v0, v7
	v_fma_f16 v5, v5, -0.5, v1
	v_lshrrev_b32_e32 v7, 16, v1
	v_sub_f16_e32 v20, v10, v12
	v_add_f16_e32 v1, v1, v9
	v_fma_f16 v23, v20, s1, v5
	v_fma_f16 v5, v20, s0, v5
	v_add_f16_e32 v20, v7, v10
	v_add_f16_e32 v10, v10, v12
	v_fma_f16 v7, v10, -0.5, v7
	v_add_f16_e32 v10, v1, v11
	v_sub_f16_e32 v1, v9, v11
	v_add_f16_e32 v20, v20, v12
	v_fma_f16 v9, v1, s0, v7
	v_fma_f16 v7, v1, s1, v7
	v_pack_b32_f16 v11, v0, v22
	ds_read2_b32 v[0:1], v62 offset0:6 offset1:249
	v_pack_b32_f16 v4, v18, v4
	s_waitcnt lgkmcnt(0)
	s_barrier
	v_pack_b32_f16 v6, v21, v6
	ds_write_b32 v60, v4 offset:2592
	v_pack_b32_f16 v4, v10, v20
	ds_write_b32 v60, v11
	ds_write_b32 v60, v6 offset:1296
	ds_write_b32 v79, v4
	v_pack_b32_f16 v4, v23, v9
	ds_write_b32 v79, v4 offset:1296
	v_pack_b32_f16 v4, v5, v7
	ds_write_b32 v79, v4 offset:2592
	v_add_f16_e32 v4, v13, v2
	v_fma_f16 v4, v4, -0.5, v0
	v_sub_f16_e32 v5, v14, v15
	v_fma_f16 v6, v5, s1, v4
	v_fma_f16 v4, v5, s0, v4
	v_lshrrev_b32_e32 v5, 16, v0
	v_add_f16_e32 v9, v14, v15
	v_add_f16_e32 v0, v0, v13
	;; [unrolled: 1-line block ×3, first 2 shown]
	v_fma_f16 v5, v9, -0.5, v5
	v_add_f16_e32 v0, v0, v2
	v_sub_f16_e32 v2, v13, v2
	v_fma_f16 v9, v2, s0, v5
	v_fma_f16 v2, v2, s1, v5
	v_add_f16_e32 v5, v16, v19
	v_add_f16_e32 v7, v7, v15
	v_fma_f16 v5, v5, -0.5, v1
	v_lshrrev_b32_e32 v10, 16, v1
	v_sub_f16_e32 v11, v17, v3
	v_fma_f16 v12, v11, s1, v5
	v_fma_f16 v5, v11, s0, v5
	v_add_f16_e32 v11, v10, v17
	v_pack_b32_f16 v0, v0, v7
	v_add_f16_e32 v1, v1, v16
	v_add_f16_e32 v11, v11, v3
	v_add_f16_e32 v3, v17, v3
	ds_write_b32 v80, v0
	v_pack_b32_f16 v0, v6, v9
	v_fma_f16 v3, v3, -0.5, v10
	v_add_f16_e32 v1, v1, v19
	v_sub_f16_e32 v10, v16, v19
	ds_write_b32 v80, v0 offset:1296
	v_pack_b32_f16 v0, v4, v2
	v_fma_f16 v13, v10, s0, v3
	ds_write_b32 v80, v0 offset:2592
	v_pack_b32_f16 v0, v1, v11
	v_fma_f16 v3, v10, s1, v3
	ds_write_b32 v81, v0 offset:7776
	v_pack_b32_f16 v0, v12, v13
	ds_write_b32 v81, v0 offset:9072
	v_pack_b32_f16 v0, v5, v3
	ds_write_b32 v81, v0 offset:10368
	s_waitcnt lgkmcnt(0)
	s_barrier
	ds_read2_b32 v[0:1], v61 offset0:12 offset1:255
	ds_read2_b32 v[2:3], v55 offset0:8 offset1:251
	;; [unrolled: 1-line block ×3, first 2 shown]
	s_waitcnt lgkmcnt(2)
	v_lshrrev_b32_e32 v6, 16, v0
	v_mul_f16_sdwa v11, v39, v6 dst_sel:DWORD dst_unused:UNUSED_PAD src0_sel:WORD_1 src1_sel:DWORD
	v_fma_f16 v11, v39, v0, v11
	v_mul_f16_sdwa v0, v39, v0 dst_sel:DWORD dst_unused:UNUSED_PAD src0_sel:WORD_1 src1_sel:DWORD
	s_waitcnt lgkmcnt(1)
	v_lshrrev_b32_e32 v7, 16, v2
	v_fma_f16 v6, v39, v6, -v0
	v_mul_f16_sdwa v0, v40, v2 dst_sel:DWORD dst_unused:UNUSED_PAD src0_sel:WORD_1 src1_sel:DWORD
	v_lshrrev_b32_e32 v9, 16, v1
	v_fma_f16 v12, v40, v7, -v0
	v_mul_f16_sdwa v0, v40, v7 dst_sel:DWORD dst_unused:UNUSED_PAD src0_sel:WORD_1 src1_sel:DWORD
	v_fma_f16 v7, v40, v2, v0
	v_mul_f16_sdwa v0, v37, v9 dst_sel:DWORD dst_unused:UNUSED_PAD src0_sel:WORD_1 src1_sel:DWORD
	v_lshrrev_b32_e32 v10, 16, v3
	v_fma_f16 v13, v37, v1, v0
	v_mul_f16_sdwa v2, v37, v1 dst_sel:DWORD dst_unused:UNUSED_PAD src0_sel:WORD_1 src1_sel:DWORD
	ds_read2_b32 v[0:1], v53 offset0:6 offset1:249
	v_fma_f16 v9, v37, v9, -v2
	v_mul_f16_sdwa v2, v38, v10 dst_sel:DWORD dst_unused:UNUSED_PAD src0_sel:WORD_1 src1_sel:DWORD
	v_fma_f16 v14, v38, v3, v2
	v_mul_f16_sdwa v2, v38, v3 dst_sel:DWORD dst_unused:UNUSED_PAD src0_sel:WORD_1 src1_sel:DWORD
	s_waitcnt lgkmcnt(1)
	v_lshrrev_b32_e32 v3, 16, v4
	v_mul_f16_sdwa v15, v33, v3 dst_sel:DWORD dst_unused:UNUSED_PAD src0_sel:WORD_1 src1_sel:DWORD
	v_fma_f16 v15, v33, v4, v15
	v_mul_f16_sdwa v4, v33, v4 dst_sel:DWORD dst_unused:UNUSED_PAD src0_sel:WORD_1 src1_sel:DWORD
	v_fma_f16 v10, v38, v10, -v2
	s_waitcnt lgkmcnt(0)
	v_lshrrev_b32_e32 v2, 16, v0
	v_fma_f16 v4, v33, v3, -v4
	v_mul_f16_sdwa v3, v34, v0 dst_sel:DWORD dst_unused:UNUSED_PAD src0_sel:WORD_1 src1_sel:DWORD
	v_fma_f16 v16, v34, v2, -v3
	v_mul_f16_sdwa v2, v34, v2 dst_sel:DWORD dst_unused:UNUSED_PAD src0_sel:WORD_1 src1_sel:DWORD
	v_fma_f16 v17, v34, v0, v2
	v_lshrrev_b32_e32 v0, 16, v5
	v_mul_f16_sdwa v2, v31, v0 dst_sel:DWORD dst_unused:UNUSED_PAD src0_sel:WORD_1 src1_sel:DWORD
	v_fma_f16 v18, v31, v5, v2
	v_mul_f16_sdwa v2, v31, v5 dst_sel:DWORD dst_unused:UNUSED_PAD src0_sel:WORD_1 src1_sel:DWORD
	v_fma_f16 v19, v31, v0, -v2
	ds_read2_b32 v[2:3], v60 offset1:243
	v_lshrrev_b32_e32 v5, 16, v1
	v_mul_f16_sdwa v0, v32, v5 dst_sel:DWORD dst_unused:UNUSED_PAD src0_sel:WORD_1 src1_sel:DWORD
	v_fma_f16 v20, v32, v1, v0
	v_mul_f16_sdwa v0, v32, v1 dst_sel:DWORD dst_unused:UNUSED_PAD src0_sel:WORD_1 src1_sel:DWORD
	v_fma_f16 v5, v32, v5, -v0
	v_add_f16_e32 v0, v11, v7
	s_waitcnt lgkmcnt(0)
	v_fma_f16 v0, v0, -0.5, v2
	v_sub_f16_e32 v1, v6, v12
	v_fma_f16 v21, v1, s1, v0
	v_fma_f16 v22, v1, s0, v0
	v_lshrrev_b32_e32 v0, 16, v2
	v_add_f16_e32 v1, v0, v6
	v_add_f16_e32 v23, v1, v12
	;; [unrolled: 1-line block ×3, first 2 shown]
	v_fma_f16 v0, v1, -0.5, v0
	v_add_f16_e32 v1, v2, v11
	v_add_f16_e32 v2, v1, v7
	v_sub_f16_e32 v1, v11, v7
	v_fma_f16 v6, v1, s0, v0
	v_fma_f16 v7, v1, s1, v0
	v_add_f16_e32 v0, v13, v14
	v_fma_f16 v0, v0, -0.5, v3
	v_lshrrev_b32_e32 v1, 16, v3
	v_sub_f16_e32 v11, v9, v10
	v_fma_f16 v12, v11, s1, v0
	v_fma_f16 v11, v11, s0, v0
	v_add_f16_e32 v0, v1, v9
	v_add_f16_e32 v24, v0, v10
	v_add_f16_e32 v0, v9, v10
	v_fma_f16 v9, v0, -0.5, v1
	ds_read2_b32 v[0:1], v62 offset0:6 offset1:249
	v_sub_f16_e32 v10, v13, v14
	v_add_f16_e32 v3, v3, v13
	v_fma_f16 v13, v10, s0, v9
	v_fma_f16 v9, v10, s1, v9
	v_add_f16_e32 v10, v15, v17
	v_add_f16_e32 v3, v3, v14
	s_waitcnt lgkmcnt(0)
	v_fma_f16 v10, v10, -0.5, v0
	v_sub_f16_e32 v14, v4, v16
	v_fma_f16 v25, v14, s1, v10
	v_fma_f16 v10, v14, s0, v10
	v_lshrrev_b32_e32 v14, 16, v0
	v_add_f16_e32 v26, v14, v4
	v_add_f16_e32 v4, v4, v16
	v_fma_f16 v4, v4, -0.5, v14
	v_sub_f16_e32 v14, v15, v17
	v_add_f16_e32 v0, v0, v15
	v_fma_f16 v15, v14, s0, v4
	v_fma_f16 v4, v14, s1, v4
	v_add_f16_e32 v14, v18, v20
	v_add_f16_e32 v26, v26, v16
	;; [unrolled: 1-line block ×3, first 2 shown]
	v_fma_f16 v14, v14, -0.5, v1
	v_lshrrev_b32_e32 v16, 16, v1
	v_sub_f16_e32 v17, v19, v5
	v_fma_f16 v27, v17, s1, v14
	v_fma_f16 v14, v17, s0, v14
	v_add_f16_e32 v17, v16, v19
	v_add_f16_e32 v1, v1, v18
	;; [unrolled: 1-line block ×4, first 2 shown]
	v_fma_f16 v5, v5, -0.5, v16
	v_add_f16_e32 v1, v1, v20
	v_sub_f16_e32 v16, v18, v20
	v_pack_b32_f16 v6, v21, v6
	v_fma_f16 v18, v16, s0, v5
	v_pack_b32_f16 v2, v2, v23
	ds_write_b32 v60, v6 offset:3888
	v_pack_b32_f16 v6, v22, v7
	v_pack_b32_f16 v3, v3, v24
	;; [unrolled: 1-line block ×4, first 2 shown]
	v_fma_f16 v5, v16, s1, v5
	ds_write_b32 v60, v6 offset:7776
	ds_write2_b32 v60, v2, v3 offset1:243
	v_pack_b32_f16 v2, v12, v13
	v_pack_b32_f16 v6, v25, v15
	ds_write2_b32 v62, v0, v1 offset0:6 offset1:249
	v_pack_b32_f16 v0, v27, v18
	v_pack_b32_f16 v3, v11, v9
	ds_write2_b32 v82, v2, v6 offset0:7 offset1:250
	v_pack_b32_f16 v2, v10, v4
	ds_write_b32 v60, v0 offset:6804
	v_pack_b32_f16 v0, v14, v5
	ds_write2_b32 v83, v3, v2 offset0:11 offset1:254
	ds_write_b32 v60, v0 offset:10692
	s_waitcnt lgkmcnt(0)
	s_barrier
	ds_read2_b32 v[0:1], v60 offset1:243
	v_mad_u64_u32 v[4:5], s[0:1], s10, v8, 0
	s_movk_i32 s10, 0x40f
	s_waitcnt lgkmcnt(0)
	v_lshrrev_b32_e32 v7, 16, v0
	v_mul_f16_sdwa v2, v58, v7 dst_sel:DWORD dst_unused:UNUSED_PAD src0_sel:WORD_1 src1_sel:DWORD
	v_fma_f16 v2, v58, v0, v2
	v_cvt_f32_f16_e32 v2, v2
	v_mad_u64_u32 v[5:6], s[0:1], s11, v8, v[5:6]
	v_mul_f16_sdwa v0, v58, v0 dst_sel:DWORD dst_unused:UNUSED_PAD src0_sel:WORD_1 src1_sel:DWORD
	v_cvt_f64_f32_e32 v[2:3], v2
	v_fma_f16 v0, v58, v7, -v0
	v_cvt_f32_f16_e32 v7, v0
	v_mov_b32_e32 v0, 0x7c00
	v_mul_f64 v[2:3], v[2:3], s[2:3]
	s_mov_b32 s11, 0x8000
	v_lshlrev_b64 v[4:5], 2, v[4:5]
	v_and_or_b32 v2, v3, s6, v2
	v_cmp_ne_u32_e32 vcc, 0, v2
	v_cndmask_b32_e64 v2, 0, 1, vcc
	v_lshrrev_b32_e32 v6, 8, v3
	v_bfe_u32 v8, v3, 20, 11
	v_and_or_b32 v2, v6, s7, v2
	v_sub_u32_e32 v9, 0x3f1, v8
	v_or_b32_e32 v6, 0x1000, v2
	v_med3_i32 v9, v9, 0, 13
	v_lshrrev_b32_e32 v10, v9, v6
	v_lshlrev_b32_e32 v9, v9, v10
	v_cmp_ne_u32_e32 vcc, v9, v6
	v_cndmask_b32_e64 v6, 0, 1, vcc
	v_add_u32_e32 v8, 0xfffffc10, v8
	v_or_b32_e32 v6, v10, v6
	v_lshl_or_b32 v9, v8, 12, v2
	v_cmp_gt_i32_e32 vcc, 1, v8
	v_cndmask_b32_e32 v6, v9, v6, vcc
	v_and_b32_e32 v9, 7, v6
	v_cmp_lt_i32_e32 vcc, 5, v9
	v_cmp_eq_u32_e64 s[0:1], 3, v9
	v_lshrrev_b32_e32 v6, 2, v6
	s_or_b64 vcc, s[0:1], vcc
	v_addc_co_u32_e32 v9, vcc, 0, v6, vcc
	v_cvt_f64_f32_e32 v[6:7], v7
	v_cmp_gt_i32_e32 vcc, 31, v8
	v_cndmask_b32_e32 v9, v0, v9, vcc
	v_cmp_ne_u32_e32 vcc, 0, v2
	v_mul_f64 v[6:7], v[6:7], s[2:3]
	v_cndmask_b32_e64 v2, 0, 1, vcc
	v_lshl_or_b32 v2, v2, 9, v0
	v_cmp_eq_u32_e32 vcc, s10, v8
	v_cndmask_b32_e32 v2, v9, v2, vcc
	v_lshrrev_b32_e32 v3, 16, v3
	v_and_or_b32 v10, v3, s11, v2
	v_and_b32_e32 v10, 0xffff, v10
	v_and_or_b32 v2, v7, s6, v6
	v_cmp_ne_u32_e32 vcc, 0, v2
	v_cndmask_b32_e64 v2, 0, 1, vcc
	v_lshrrev_b32_e32 v3, 8, v7
	v_bfe_u32 v6, v7, 20, 11
	v_and_or_b32 v2, v3, s7, v2
	v_sub_u32_e32 v8, 0x3f1, v6
	v_or_b32_e32 v3, 0x1000, v2
	v_med3_i32 v8, v8, 0, 13
	v_lshrrev_b32_e32 v9, v8, v3
	v_lshlrev_b32_e32 v8, v8, v9
	v_cmp_ne_u32_e32 vcc, v8, v3
	v_cndmask_b32_e64 v3, 0, 1, vcc
	v_add_u32_e32 v6, 0xfffffc10, v6
	v_or_b32_e32 v3, v9, v3
	v_lshl_or_b32 v8, v6, 12, v2
	v_cmp_gt_i32_e32 vcc, 1, v6
	v_cndmask_b32_e32 v3, v8, v3, vcc
	v_and_b32_e32 v8, 7, v3
	v_cmp_lt_i32_e32 vcc, 5, v8
	v_cmp_eq_u32_e64 s[0:1], 3, v8
	v_lshrrev_b32_e32 v3, 2, v3
	s_or_b64 vcc, s[0:1], vcc
	v_addc_co_u32_e32 v3, vcc, 0, v3, vcc
	v_cmp_gt_i32_e32 vcc, 31, v6
	v_cndmask_b32_e32 v3, v0, v3, vcc
	v_cmp_ne_u32_e32 vcc, 0, v2
	v_cndmask_b32_e64 v2, 0, 1, vcc
	v_lshl_or_b32 v2, v2, 9, v0
	v_cmp_eq_u32_e32 vcc, s10, v6
	v_mad_u64_u32 v[8:9], s[0:1], s8, v57, 0
	v_cndmask_b32_e32 v11, v3, v2, vcc
	ds_read2_b32 v[2:3], v62 offset0:6 offset1:249
	v_mov_b32_e32 v6, v9
	v_lshrrev_b32_e32 v12, 16, v7
	v_mad_u64_u32 v[6:7], s[0:1], s9, v57, v[6:7]
	s_waitcnt lgkmcnt(0)
	v_lshrrev_b32_e32 v13, 16, v2
	v_mul_f16_sdwa v7, v56, v13 dst_sel:DWORD dst_unused:UNUSED_PAD src0_sel:WORD_1 src1_sel:DWORD
	v_fma_f16 v7, v56, v2, v7
	v_cvt_f32_f16_e32 v7, v7
	v_mov_b32_e32 v9, v6
	v_and_or_b32 v11, v12, s11, v11
	v_lshl_or_b32 v10, v11, 16, v10
	v_cvt_f64_f32_e32 v[6:7], v7
	v_mov_b32_e32 v11, s5
	v_add_co_u32_e32 v12, vcc, s4, v4
	v_mul_f64 v[6:7], v[6:7], s[2:3]
	v_addc_co_u32_e32 v11, vcc, v11, v5, vcc
	v_lshlrev_b64 v[4:5], 2, v[8:9]
	v_mul_f16_sdwa v2, v56, v2 dst_sel:DWORD dst_unused:UNUSED_PAD src0_sel:WORD_1 src1_sel:DWORD
	v_add_co_u32_e32 v8, vcc, v12, v4
	v_addc_co_u32_e32 v9, vcc, v11, v5, vcc
	v_and_or_b32 v4, v7, s6, v6
	v_cmp_ne_u32_e32 vcc, 0, v4
	v_cndmask_b32_e64 v4, 0, 1, vcc
	v_lshrrev_b32_e32 v5, 8, v7
	global_store_dword v[8:9], v10, off
	v_and_or_b32 v10, v5, s7, v4
	v_bfe_u32 v5, v7, 20, 11
	v_sub_u32_e32 v6, 0x3f1, v5
	v_or_b32_e32 v4, 0x1000, v10
	v_med3_i32 v6, v6, 0, 13
	v_lshrrev_b32_e32 v11, v6, v4
	v_lshlrev_b32_e32 v6, v6, v11
	v_cmp_ne_u32_e32 vcc, v6, v4
	v_cndmask_b32_e64 v4, 0, 1, vcc
	v_fma_f16 v2, v56, v13, -v2
	v_or_b32_e32 v4, v11, v4
	v_add_u32_e32 v11, 0xfffffc10, v5
	v_cvt_f32_f16_e32 v2, v2
	v_lshl_or_b32 v5, v11, 12, v10
	v_cmp_gt_i32_e32 vcc, 1, v11
	v_cndmask_b32_e32 v4, v5, v4, vcc
	v_and_b32_e32 v5, 7, v4
	v_cmp_lt_i32_e32 vcc, 5, v5
	v_cmp_eq_u32_e64 s[0:1], 3, v5
	v_lshrrev_b32_e32 v6, 2, v4
	v_cvt_f64_f32_e32 v[4:5], v2
	s_or_b64 vcc, s[0:1], vcc
	v_addc_co_u32_e32 v2, vcc, 0, v6, vcc
	v_mul_f64 v[5:6], v[4:5], s[2:3]
	v_cmp_gt_i32_e32 vcc, 31, v11
	v_cndmask_b32_e32 v2, v0, v2, vcc
	v_cmp_ne_u32_e32 vcc, 0, v10
	v_cndmask_b32_e64 v4, 0, 1, vcc
	v_lshl_or_b32 v4, v4, 9, v0
	v_cmp_eq_u32_e32 vcc, s10, v11
	v_cndmask_b32_e32 v2, v2, v4, vcc
	v_lshrrev_b32_e32 v4, 16, v7
	v_and_or_b32 v2, v4, s11, v2
	v_and_or_b32 v4, v6, s6, v5
	v_cmp_ne_u32_e32 vcc, 0, v4
	v_cndmask_b32_e64 v4, 0, 1, vcc
	v_lshrrev_b32_e32 v5, 8, v6
	v_bfe_u32 v7, v6, 20, 11
	v_and_or_b32 v4, v5, s7, v4
	v_sub_u32_e32 v10, 0x3f1, v7
	v_or_b32_e32 v5, 0x1000, v4
	v_med3_i32 v10, v10, 0, 13
	v_lshrrev_b32_e32 v11, v10, v5
	v_lshlrev_b32_e32 v10, v10, v11
	v_cmp_ne_u32_e32 vcc, v10, v5
	v_cndmask_b32_e64 v5, 0, 1, vcc
	v_add_u32_e32 v7, 0xfffffc10, v7
	v_or_b32_e32 v5, v11, v5
	v_lshl_or_b32 v10, v7, 12, v4
	v_cmp_gt_i32_e32 vcc, 1, v7
	v_cndmask_b32_e32 v5, v10, v5, vcc
	v_and_b32_e32 v10, 7, v5
	v_cmp_lt_i32_e32 vcc, 5, v10
	v_cmp_eq_u32_e64 s[0:1], 3, v10
	v_lshrrev_b32_e32 v5, 2, v5
	s_or_b64 vcc, s[0:1], vcc
	v_addc_co_u32_e32 v5, vcc, 0, v5, vcc
	v_cmp_gt_i32_e32 vcc, 31, v7
	v_cndmask_b32_e32 v10, v0, v5, vcc
	v_cmp_ne_u32_e32 vcc, 0, v4
	ds_read2_b32 v[4:5], v61 offset0:12 offset1:255
	v_cndmask_b32_e64 v11, 0, 1, vcc
	v_lshl_or_b32 v11, v11, 9, v0
	v_cmp_eq_u32_e32 vcc, s10, v7
	v_cndmask_b32_e32 v7, v10, v11, vcc
	s_waitcnt lgkmcnt(0)
	v_lshrrev_b32_e32 v10, 16, v4
	v_mul_f16_sdwa v11, v54, v10 dst_sel:DWORD dst_unused:UNUSED_PAD src0_sel:WORD_1 src1_sel:DWORD
	v_fma_f16 v11, v54, v4, v11
	v_cvt_f32_f16_e32 v11, v11
	v_lshrrev_b32_e32 v6, 16, v6
	v_and_or_b32 v6, v6, s11, v7
	v_and_b32_e32 v2, 0xffff, v2
	v_lshl_or_b32 v2, v6, 16, v2
	v_cvt_f64_f32_e32 v[6:7], v11
	s_mul_i32 s0, s9, 0x798
	s_mul_hi_u32 s4, s8, 0x798
	s_add_i32 s4, s4, s0
	v_mul_f64 v[6:7], v[6:7], s[2:3]
	s_mul_i32 s5, s8, 0x798
	v_mov_b32_e32 v11, s4
	v_add_co_u32_e32 v8, vcc, s5, v8
	v_addc_co_u32_e32 v9, vcc, v9, v11, vcc
	global_store_dword v[8:9], v2, off
	v_and_or_b32 v2, v7, s6, v6
	v_cmp_ne_u32_e32 vcc, 0, v2
	v_cndmask_b32_e64 v2, 0, 1, vcc
	v_lshrrev_b32_e32 v6, 8, v7
	v_bfe_u32 v11, v7, 20, 11
	v_and_or_b32 v2, v6, s7, v2
	v_sub_u32_e32 v12, 0x3f1, v11
	v_or_b32_e32 v6, 0x1000, v2
	v_med3_i32 v12, v12, 0, 13
	v_lshrrev_b32_e32 v13, v12, v6
	v_lshlrev_b32_e32 v12, v12, v13
	v_mul_f16_sdwa v4, v54, v4 dst_sel:DWORD dst_unused:UNUSED_PAD src0_sel:WORD_1 src1_sel:DWORD
	v_cmp_ne_u32_e32 vcc, v12, v6
	v_fma_f16 v4, v54, v10, -v4
	v_cndmask_b32_e64 v6, 0, 1, vcc
	v_add_u32_e32 v12, 0xfffffc10, v11
	v_cvt_f32_f16_e32 v4, v4
	v_or_b32_e32 v6, v13, v6
	v_lshl_or_b32 v11, v12, 12, v2
	v_cmp_gt_i32_e32 vcc, 1, v12
	v_cndmask_b32_e32 v6, v11, v6, vcc
	v_and_b32_e32 v11, 7, v6
	v_cmp_lt_i32_e32 vcc, 5, v11
	v_cmp_eq_u32_e64 s[0:1], 3, v11
	v_cvt_f64_f32_e32 v[10:11], v4
	v_lshrrev_b32_e32 v6, 2, v6
	s_or_b64 vcc, s[0:1], vcc
	v_addc_co_u32_e32 v4, vcc, 0, v6, vcc
	v_mul_f64 v[10:11], v[10:11], s[2:3]
	v_cmp_gt_i32_e32 vcc, 31, v12
	v_cndmask_b32_e32 v4, v0, v4, vcc
	v_cmp_ne_u32_e32 vcc, 0, v2
	v_cndmask_b32_e64 v2, 0, 1, vcc
	v_lshl_or_b32 v2, v2, 9, v0
	v_cmp_eq_u32_e32 vcc, s10, v12
	v_cndmask_b32_e32 v2, v4, v2, vcc
	v_lshrrev_b32_e32 v4, 16, v7
	v_and_or_b32 v2, v4, s11, v2
	v_and_or_b32 v4, v11, s6, v10
	v_cmp_ne_u32_e32 vcc, 0, v4
	v_cndmask_b32_e64 v4, 0, 1, vcc
	v_lshrrev_b32_e32 v6, 8, v11
	v_bfe_u32 v7, v11, 20, 11
	v_and_or_b32 v4, v6, s7, v4
	v_sub_u32_e32 v10, 0x3f1, v7
	v_or_b32_e32 v6, 0x1000, v4
	v_med3_i32 v10, v10, 0, 13
	v_lshrrev_b32_e32 v12, v10, v6
	v_lshlrev_b32_e32 v10, v10, v12
	v_cmp_ne_u32_e32 vcc, v10, v6
	v_cndmask_b32_e64 v6, 0, 1, vcc
	v_add_u32_e32 v10, 0xfffffc10, v7
	v_or_b32_e32 v6, v12, v6
	v_lshl_or_b32 v7, v10, 12, v4
	v_cmp_gt_i32_e32 vcc, 1, v10
	v_cndmask_b32_e32 v6, v7, v6, vcc
	v_and_b32_e32 v7, 7, v6
	v_cmp_lt_i32_e32 vcc, 5, v7
	v_cmp_eq_u32_e64 s[0:1], 3, v7
	v_lshrrev_b32_e32 v6, 2, v6
	s_or_b64 vcc, s[0:1], vcc
	v_addc_co_u32_e32 v12, vcc, 0, v6, vcc
	ds_read2_b32 v[6:7], v59 offset0:2 offset1:245
	v_cmp_gt_i32_e32 vcc, 31, v10
	v_cndmask_b32_e32 v12, v0, v12, vcc
	v_cmp_ne_u32_e32 vcc, 0, v4
	v_cndmask_b32_e64 v4, 0, 1, vcc
	s_waitcnt lgkmcnt(0)
	v_lshrrev_b32_e32 v14, 16, v6
	v_mul_f16_sdwa v13, v52, v14 dst_sel:DWORD dst_unused:UNUSED_PAD src0_sel:WORD_1 src1_sel:DWORD
	v_fma_f16 v13, v52, v6, v13
	v_cvt_f32_f16_e32 v13, v13
	v_lshl_or_b32 v4, v4, 9, v0
	v_cmp_eq_u32_e32 vcc, s10, v10
	v_cndmask_b32_e32 v4, v12, v4, vcc
	v_cvt_f64_f32_e32 v[12:13], v13
	v_lshrrev_b32_e32 v10, 16, v11
	v_and_or_b32 v4, v10, s11, v4
	v_and_b32_e32 v2, 0xffff, v2
	v_mul_f64 v[10:11], v[12:13], s[2:3]
	v_lshl_or_b32 v2, v4, 16, v2
	v_mov_b32_e32 v4, s4
	v_add_co_u32_e32 v12, vcc, s5, v8
	v_addc_co_u32_e32 v13, vcc, v9, v4, vcc
	global_store_dword v[12:13], v2, off
	v_and_or_b32 v2, v11, s6, v10
	v_cmp_ne_u32_e32 vcc, 0, v2
	v_cndmask_b32_e64 v2, 0, 1, vcc
	v_lshrrev_b32_e32 v4, 8, v11
	v_bfe_u32 v8, v11, 20, 11
	v_and_or_b32 v2, v4, s7, v2
	v_sub_u32_e32 v9, 0x3f1, v8
	v_or_b32_e32 v4, 0x1000, v2
	v_med3_i32 v9, v9, 0, 13
	v_lshrrev_b32_e32 v10, v9, v4
	v_lshlrev_b32_e32 v9, v9, v10
	v_mul_f16_sdwa v6, v52, v6 dst_sel:DWORD dst_unused:UNUSED_PAD src0_sel:WORD_1 src1_sel:DWORD
	v_cmp_ne_u32_e32 vcc, v9, v4
	v_fma_f16 v6, v52, v14, -v6
	v_cndmask_b32_e64 v4, 0, 1, vcc
	v_add_u32_e32 v15, 0xfffffc10, v8
	v_cvt_f32_f16_e32 v6, v6
	v_or_b32_e32 v4, v10, v4
	v_lshl_or_b32 v8, v15, 12, v2
	v_cmp_gt_i32_e32 vcc, 1, v15
	v_cndmask_b32_e32 v4, v8, v4, vcc
	v_and_b32_e32 v8, 7, v4
	v_cmp_lt_i32_e32 vcc, 5, v8
	v_cmp_eq_u32_e64 s[0:1], 3, v8
	v_cvt_f64_f32_e32 v[8:9], v6
	v_lshrrev_b32_e32 v4, 2, v4
	s_or_b64 vcc, s[0:1], vcc
	v_addc_co_u32_e32 v4, vcc, 0, v4, vcc
	v_mul_f64 v[9:10], v[8:9], s[2:3]
	v_cmp_gt_i32_e32 vcc, 31, v15
	v_cndmask_b32_e32 v4, v0, v4, vcc
	v_cmp_ne_u32_e32 vcc, 0, v2
	v_cndmask_b32_e64 v2, 0, 1, vcc
	v_lshl_or_b32 v2, v2, 9, v0
	v_cmp_eq_u32_e32 vcc, s10, v15
	v_cndmask_b32_e32 v2, v4, v2, vcc
	v_lshrrev_b32_e32 v4, 16, v11
	v_and_or_b32 v2, v4, s11, v2
	v_and_or_b32 v4, v10, s6, v9
	v_cmp_ne_u32_e32 vcc, 0, v4
	v_cndmask_b32_e64 v4, 0, 1, vcc
	v_lshrrev_b32_e32 v6, 8, v10
	v_bfe_u32 v8, v10, 20, 11
	v_and_or_b32 v4, v6, s7, v4
	v_sub_u32_e32 v9, 0x3f1, v8
	v_or_b32_e32 v6, 0x1000, v4
	v_med3_i32 v9, v9, 0, 13
	v_lshrrev_b32_e32 v11, v9, v6
	v_lshlrev_b32_e32 v9, v9, v11
	v_cmp_ne_u32_e32 vcc, v9, v6
	v_cndmask_b32_e64 v6, 0, 1, vcc
	v_or_b32_e32 v6, v11, v6
	v_add_u32_e32 v11, 0xfffffc10, v8
	v_lshl_or_b32 v8, v11, 12, v4
	v_cmp_gt_i32_e32 vcc, 1, v11
	v_cndmask_b32_e32 v6, v8, v6, vcc
	v_and_b32_e32 v8, 7, v6
	v_cmp_lt_i32_e32 vcc, 5, v8
	v_cmp_eq_u32_e64 s[0:1], 3, v8
	ds_read2_b32 v[8:9], v55 offset0:8 offset1:251
	v_lshrrev_b32_e32 v6, 2, v6
	s_or_b64 vcc, s[0:1], vcc
	v_addc_co_u32_e32 v6, vcc, 0, v6, vcc
	s_waitcnt lgkmcnt(0)
	v_lshrrev_b32_e32 v16, 16, v8
	v_mul_f16_sdwa v14, v51, v16 dst_sel:DWORD dst_unused:UNUSED_PAD src0_sel:WORD_1 src1_sel:DWORD
	v_fma_f16 v14, v51, v8, v14
	v_cvt_f32_f16_e32 v14, v14
	v_cmp_gt_i32_e32 vcc, 31, v11
	v_cndmask_b32_e32 v6, v0, v6, vcc
	v_cmp_ne_u32_e32 vcc, 0, v4
	v_cvt_f64_f32_e32 v[14:15], v14
	v_cndmask_b32_e64 v4, 0, 1, vcc
	v_lshl_or_b32 v4, v4, 9, v0
	v_cmp_eq_u32_e32 vcc, s10, v11
	v_cndmask_b32_e32 v4, v6, v4, vcc
	v_lshrrev_b32_e32 v6, 16, v10
	v_mul_f64 v[10:11], v[14:15], s[2:3]
	v_and_or_b32 v4, v6, s11, v4
	v_and_b32_e32 v2, 0xffff, v2
	v_lshl_or_b32 v2, v4, 16, v2
	v_mov_b32_e32 v4, s4
	v_add_co_u32_e32 v12, vcc, s5, v12
	v_addc_co_u32_e32 v13, vcc, v13, v4, vcc
	global_store_dword v[12:13], v2, off
	v_and_or_b32 v2, v11, s6, v10
	v_cmp_ne_u32_e32 vcc, 0, v2
	v_cndmask_b32_e64 v2, 0, 1, vcc
	v_lshrrev_b32_e32 v4, 8, v11
	v_bfe_u32 v6, v11, 20, 11
	v_and_or_b32 v2, v4, s7, v2
	v_sub_u32_e32 v10, 0x3f1, v6
	v_mul_f16_sdwa v8, v51, v8 dst_sel:DWORD dst_unused:UNUSED_PAD src0_sel:WORD_1 src1_sel:DWORD
	v_or_b32_e32 v4, 0x1000, v2
	v_med3_i32 v10, v10, 0, 13
	v_fma_f16 v8, v51, v16, -v8
	v_lshrrev_b32_e32 v14, v10, v4
	v_cvt_f32_f16_e32 v8, v8
	v_lshlrev_b32_e32 v10, v10, v14
	v_cmp_ne_u32_e32 vcc, v10, v4
	v_cndmask_b32_e64 v4, 0, 1, vcc
	v_or_b32_e32 v4, v14, v4
	v_add_u32_e32 v6, 0xfffffc10, v6
	v_cvt_f64_f32_e32 v[14:15], v8
	v_lshl_or_b32 v10, v6, 12, v2
	v_cmp_gt_i32_e32 vcc, 1, v6
	v_cndmask_b32_e32 v4, v10, v4, vcc
	v_and_b32_e32 v10, 7, v4
	v_cmp_lt_i32_e32 vcc, 5, v10
	v_cmp_eq_u32_e64 s[0:1], 3, v10
	v_mul_f64 v[14:15], v[14:15], s[2:3]
	v_lshrrev_b32_e32 v4, 2, v4
	s_or_b64 vcc, s[0:1], vcc
	v_addc_co_u32_e32 v4, vcc, 0, v4, vcc
	v_cmp_gt_i32_e32 vcc, 31, v6
	v_cndmask_b32_e32 v4, v0, v4, vcc
	v_cmp_ne_u32_e32 vcc, 0, v2
	v_cndmask_b32_e64 v2, 0, 1, vcc
	v_lshl_or_b32 v2, v2, 9, v0
	v_cmp_eq_u32_e32 vcc, s10, v6
	v_cndmask_b32_e32 v2, v4, v2, vcc
	v_lshrrev_b32_e32 v4, 16, v11
	v_and_or_b32 v2, v4, s11, v2
	v_and_or_b32 v4, v15, s6, v14
	v_cmp_ne_u32_e32 vcc, 0, v4
	v_cndmask_b32_e64 v4, 0, 1, vcc
	v_lshrrev_b32_e32 v6, 8, v15
	v_bfe_u32 v8, v15, 20, 11
	v_and_or_b32 v4, v6, s7, v4
	v_sub_u32_e32 v10, 0x3f1, v8
	v_or_b32_e32 v6, 0x1000, v4
	v_med3_i32 v10, v10, 0, 13
	v_lshrrev_b32_e32 v11, v10, v6
	v_lshlrev_b32_e32 v10, v10, v11
	v_cmp_ne_u32_e32 vcc, v10, v6
	v_cndmask_b32_e64 v6, 0, 1, vcc
	v_add_u32_e32 v8, 0xfffffc10, v8
	v_or_b32_e32 v6, v11, v6
	v_lshl_or_b32 v10, v8, 12, v4
	v_cmp_gt_i32_e32 vcc, 1, v8
	v_cndmask_b32_e32 v6, v10, v6, vcc
	v_and_b32_e32 v10, 7, v6
	v_cmp_lt_i32_e32 vcc, 5, v10
	v_cmp_eq_u32_e64 s[0:1], 3, v10
	ds_read2_b32 v[10:11], v53 offset0:6 offset1:249
	v_lshrrev_b32_e32 v6, 2, v6
	s_or_b64 vcc, s[0:1], vcc
	v_addc_co_u32_e32 v6, vcc, 0, v6, vcc
	s_waitcnt lgkmcnt(0)
	v_lshrrev_b32_e32 v18, 16, v10
	v_mul_f16_sdwa v14, v50, v18 dst_sel:DWORD dst_unused:UNUSED_PAD src0_sel:WORD_1 src1_sel:DWORD
	v_fma_f16 v14, v50, v10, v14
	v_cvt_f32_f16_e32 v14, v14
	v_cmp_gt_i32_e32 vcc, 31, v8
	v_cndmask_b32_e32 v6, v0, v6, vcc
	v_cmp_ne_u32_e32 vcc, 0, v4
	v_cvt_f64_f32_e32 v[16:17], v14
	v_cndmask_b32_e64 v4, 0, 1, vcc
	v_lshl_or_b32 v4, v4, 9, v0
	v_cmp_eq_u32_e32 vcc, s10, v8
	v_cndmask_b32_e32 v4, v6, v4, vcc
	v_lshrrev_b32_e32 v6, 16, v15
	v_mul_f64 v[14:15], v[16:17], s[2:3]
	v_and_or_b32 v4, v6, s11, v4
	v_and_b32_e32 v2, 0xffff, v2
	v_lshl_or_b32 v2, v4, 16, v2
	v_mov_b32_e32 v4, s4
	v_add_co_u32_e32 v12, vcc, s5, v12
	v_addc_co_u32_e32 v13, vcc, v13, v4, vcc
	global_store_dword v[12:13], v2, off
	v_and_or_b32 v2, v15, s6, v14
	v_cmp_ne_u32_e32 vcc, 0, v2
	v_cndmask_b32_e64 v2, 0, 1, vcc
	v_lshrrev_b32_e32 v4, 8, v15
	v_bfe_u32 v6, v15, 20, 11
	v_mul_f16_sdwa v10, v50, v10 dst_sel:DWORD dst_unused:UNUSED_PAD src0_sel:WORD_1 src1_sel:DWORD
	v_and_or_b32 v2, v4, s7, v2
	v_sub_u32_e32 v8, 0x3f1, v6
	v_fma_f16 v10, v50, v18, -v10
	v_or_b32_e32 v4, 0x1000, v2
	v_med3_i32 v8, v8, 0, 13
	v_cvt_f32_f16_e32 v10, v10
	v_lshrrev_b32_e32 v14, v8, v4
	v_lshlrev_b32_e32 v8, v8, v14
	v_cmp_ne_u32_e32 vcc, v8, v4
	v_cndmask_b32_e64 v4, 0, 1, vcc
	v_add_u32_e32 v6, 0xfffffc10, v6
	v_cvt_f64_f32_e32 v[16:17], v10
	v_or_b32_e32 v4, v14, v4
	v_lshl_or_b32 v8, v6, 12, v2
	v_cmp_gt_i32_e32 vcc, 1, v6
	v_cndmask_b32_e32 v4, v8, v4, vcc
	v_and_b32_e32 v8, 7, v4
	v_cmp_lt_i32_e32 vcc, 5, v8
	v_cmp_eq_u32_e64 s[0:1], 3, v8
	v_mul_f64 v[16:17], v[16:17], s[2:3]
	v_lshrrev_b32_e32 v4, 2, v4
	s_or_b64 vcc, s[0:1], vcc
	v_addc_co_u32_e32 v4, vcc, 0, v4, vcc
	v_cmp_gt_i32_e32 vcc, 31, v6
	v_cndmask_b32_e32 v4, v0, v4, vcc
	v_cmp_ne_u32_e32 vcc, 0, v2
	v_cndmask_b32_e64 v2, 0, 1, vcc
	v_lshl_or_b32 v2, v2, 9, v0
	v_cmp_eq_u32_e32 vcc, s10, v6
	v_cndmask_b32_e32 v2, v4, v2, vcc
	v_lshrrev_b32_e32 v4, 16, v15
	v_and_or_b32 v2, v4, s11, v2
	v_and_or_b32 v4, v17, s6, v16
	v_cmp_ne_u32_e32 vcc, 0, v4
	v_cndmask_b32_e64 v4, 0, 1, vcc
	v_lshrrev_b32_e32 v6, 8, v17
	v_bfe_u32 v8, v17, 20, 11
	v_and_or_b32 v4, v6, s7, v4
	v_sub_u32_e32 v10, 0x3f1, v8
	v_or_b32_e32 v6, 0x1000, v4
	v_med3_i32 v10, v10, 0, 13
	v_lshrrev_b32_e32 v14, v10, v6
	v_lshlrev_b32_e32 v10, v10, v14
	v_cmp_ne_u32_e32 vcc, v10, v6
	v_cndmask_b32_e64 v6, 0, 1, vcc
	v_add_u32_e32 v8, 0xfffffc10, v8
	v_or_b32_e32 v6, v14, v6
	v_lshl_or_b32 v10, v8, 12, v4
	v_cmp_gt_i32_e32 vcc, 1, v8
	v_cndmask_b32_e32 v6, v10, v6, vcc
	v_and_b32_e32 v10, 7, v6
	v_cmp_lt_i32_e32 vcc, 5, v10
	v_cmp_eq_u32_e64 s[0:1], 3, v10
	v_lshrrev_b32_e32 v10, 16, v1
	v_mul_f16_sdwa v14, v49, v10 dst_sel:DWORD dst_unused:UNUSED_PAD src0_sel:WORD_1 src1_sel:DWORD
	v_fma_f16 v14, v49, v1, v14
	v_cvt_f32_f16_e32 v14, v14
	v_lshrrev_b32_e32 v6, 2, v6
	s_or_b64 vcc, s[0:1], vcc
	v_addc_co_u32_e32 v6, vcc, 0, v6, vcc
	v_cvt_f64_f32_e32 v[14:15], v14
	v_cmp_gt_i32_e32 vcc, 31, v8
	v_cndmask_b32_e32 v6, v0, v6, vcc
	v_cmp_ne_u32_e32 vcc, 0, v4
	v_mul_f64 v[14:15], v[14:15], s[2:3]
	v_cndmask_b32_e64 v4, 0, 1, vcc
	v_lshl_or_b32 v4, v4, 9, v0
	v_cmp_eq_u32_e32 vcc, s10, v8
	v_cndmask_b32_e32 v4, v6, v4, vcc
	v_lshrrev_b32_e32 v6, 16, v17
	v_and_or_b32 v4, v6, s11, v4
	v_and_b32_e32 v2, 0xffff, v2
	v_lshl_or_b32 v2, v4, 16, v2
	v_mov_b32_e32 v4, s4
	v_add_co_u32_e32 v12, vcc, s5, v12
	v_addc_co_u32_e32 v13, vcc, v13, v4, vcc
	global_store_dword v[12:13], v2, off
	v_and_or_b32 v2, v15, s6, v14
	v_cmp_ne_u32_e32 vcc, 0, v2
	v_cndmask_b32_e64 v2, 0, 1, vcc
	v_lshrrev_b32_e32 v4, 8, v15
	v_bfe_u32 v6, v15, 20, 11
	v_and_or_b32 v4, v4, s7, v2
	v_sub_u32_e32 v8, 0x3f1, v6
	v_or_b32_e32 v2, 0x1000, v4
	v_med3_i32 v8, v8, 0, 13
	v_lshrrev_b32_e32 v14, v8, v2
	v_lshlrev_b32_e32 v8, v8, v14
	v_mul_f16_sdwa v1, v49, v1 dst_sel:DWORD dst_unused:UNUSED_PAD src0_sel:WORD_1 src1_sel:DWORD
	v_cmp_ne_u32_e32 vcc, v8, v2
	v_fma_f16 v1, v49, v10, -v1
	v_cndmask_b32_e64 v2, 0, 1, vcc
	v_add_u32_e32 v6, 0xfffffc10, v6
	v_cvt_f32_f16_e32 v1, v1
	v_or_b32_e32 v2, v14, v2
	v_lshl_or_b32 v8, v6, 12, v4
	v_cmp_gt_i32_e32 vcc, 1, v6
	v_cndmask_b32_e32 v2, v8, v2, vcc
	v_and_b32_e32 v8, 7, v2
	v_cmp_lt_i32_e32 vcc, 5, v8
	v_cmp_eq_u32_e64 s[0:1], 3, v8
	v_lshrrev_b32_e32 v8, 2, v2
	v_cvt_f64_f32_e32 v[1:2], v1
	s_or_b64 vcc, s[0:1], vcc
	v_addc_co_u32_e32 v8, vcc, 0, v8, vcc
	v_mul_f64 v[1:2], v[1:2], s[2:3]
	v_cmp_gt_i32_e32 vcc, 31, v6
	v_cndmask_b32_e32 v8, v0, v8, vcc
	v_cmp_ne_u32_e32 vcc, 0, v4
	v_cndmask_b32_e64 v4, 0, 1, vcc
	v_lshl_or_b32 v4, v4, 9, v0
	v_cmp_eq_u32_e32 vcc, s10, v6
	v_cndmask_b32_e32 v4, v8, v4, vcc
	v_and_or_b32 v1, v2, s6, v1
	v_lshrrev_b32_e32 v6, 16, v15
	v_cmp_ne_u32_e32 vcc, 0, v1
	v_and_or_b32 v4, v6, s11, v4
	v_cndmask_b32_e64 v1, 0, 1, vcc
	v_lshrrev_b32_e32 v6, 8, v2
	v_bfe_u32 v8, v2, 20, 11
	v_and_or_b32 v1, v6, s7, v1
	v_sub_u32_e32 v10, 0x3f1, v8
	v_or_b32_e32 v6, 0x1000, v1
	v_med3_i32 v10, v10, 0, 13
	v_lshrrev_b32_e32 v14, v10, v6
	v_lshlrev_b32_e32 v10, v10, v14
	v_cmp_ne_u32_e32 vcc, v10, v6
	v_cndmask_b32_e64 v6, 0, 1, vcc
	v_add_u32_e32 v8, 0xfffffc10, v8
	v_or_b32_e32 v6, v14, v6
	v_lshl_or_b32 v10, v8, 12, v1
	v_cmp_gt_i32_e32 vcc, 1, v8
	v_cndmask_b32_e32 v6, v10, v6, vcc
	v_and_b32_e32 v10, 7, v6
	v_cmp_lt_i32_e32 vcc, 5, v10
	v_cmp_eq_u32_e64 s[0:1], 3, v10
	v_lshrrev_b32_e32 v10, 16, v3
	v_mul_f16_sdwa v14, v47, v10 dst_sel:DWORD dst_unused:UNUSED_PAD src0_sel:WORD_1 src1_sel:DWORD
	v_fma_f16 v14, v47, v3, v14
	v_cvt_f32_f16_e32 v14, v14
	v_lshrrev_b32_e32 v6, 2, v6
	s_or_b64 vcc, s[0:1], vcc
	v_addc_co_u32_e32 v6, vcc, 0, v6, vcc
	v_cmp_gt_i32_e32 vcc, 31, v8
	v_cndmask_b32_e32 v6, v0, v6, vcc
	v_cmp_ne_u32_e32 vcc, 0, v1
	v_cvt_f64_f32_e32 v[14:15], v14
	v_cndmask_b32_e64 v1, 0, 1, vcc
	v_lshl_or_b32 v1, v1, 9, v0
	v_cmp_eq_u32_e32 vcc, s10, v8
	v_cndmask_b32_e32 v1, v6, v1, vcc
	v_lshrrev_b32_e32 v2, 16, v2
	v_and_or_b32 v6, v2, s11, v1
	v_mul_f64 v[1:2], v[14:15], s[2:3]
	v_mad_u64_u32 v[12:13], s[0:1], s8, v48, v[12:13]
	s_mul_i32 s0, s9, 0xffffddd4
	v_and_b32_e32 v4, 0xffff, v4
	s_sub_i32 s0, s0, s8
	v_lshl_or_b32 v4, v6, 16, v4
	v_add_u32_e32 v13, s0, v13
	v_and_or_b32 v1, v2, s6, v1
	v_cmp_ne_u32_e32 vcc, 0, v1
	global_store_dword v[12:13], v4, off
	v_cndmask_b32_e64 v1, 0, 1, vcc
	v_lshrrev_b32_e32 v4, 8, v2
	v_bfe_u32 v6, v2, 20, 11
	v_and_or_b32 v1, v4, s7, v1
	v_sub_u32_e32 v8, 0x3f1, v6
	v_or_b32_e32 v4, 0x1000, v1
	v_med3_i32 v8, v8, 0, 13
	v_lshrrev_b32_e32 v14, v8, v4
	v_lshlrev_b32_e32 v8, v8, v14
	v_mul_f16_sdwa v3, v47, v3 dst_sel:DWORD dst_unused:UNUSED_PAD src0_sel:WORD_1 src1_sel:DWORD
	v_cmp_ne_u32_e32 vcc, v8, v4
	v_fma_f16 v3, v47, v10, -v3
	v_cndmask_b32_e64 v4, 0, 1, vcc
	v_add_u32_e32 v6, 0xfffffc10, v6
	v_cvt_f32_f16_e32 v3, v3
	v_or_b32_e32 v4, v14, v4
	v_lshl_or_b32 v8, v6, 12, v1
	v_cmp_gt_i32_e32 vcc, 1, v6
	v_cndmask_b32_e32 v4, v8, v4, vcc
	v_and_b32_e32 v8, 7, v4
	v_cmp_lt_i32_e32 vcc, 5, v8
	v_cmp_eq_u32_e64 s[0:1], 3, v8
	v_lshrrev_b32_e32 v8, 2, v4
	v_cvt_f64_f32_e32 v[3:4], v3
	s_or_b64 vcc, s[0:1], vcc
	v_addc_co_u32_e32 v8, vcc, 0, v8, vcc
	v_mul_f64 v[3:4], v[3:4], s[2:3]
	v_cmp_gt_i32_e32 vcc, 31, v6
	v_cndmask_b32_e32 v8, v0, v8, vcc
	v_cmp_ne_u32_e32 vcc, 0, v1
	v_cndmask_b32_e64 v1, 0, 1, vcc
	v_lshl_or_b32 v1, v1, 9, v0
	v_cmp_eq_u32_e32 vcc, s10, v6
	v_cndmask_b32_e32 v1, v8, v1, vcc
	v_lshrrev_b32_e32 v2, 16, v2
	v_and_or_b32 v6, v2, s11, v1
	v_and_or_b32 v1, v4, s6, v3
	v_cmp_ne_u32_e32 vcc, 0, v1
	v_cndmask_b32_e64 v1, 0, 1, vcc
	v_lshrrev_b32_e32 v2, 8, v4
	v_bfe_u32 v3, v4, 20, 11
	v_and_or_b32 v1, v2, s7, v1
	v_sub_u32_e32 v8, 0x3f1, v3
	v_or_b32_e32 v2, 0x1000, v1
	v_med3_i32 v8, v8, 0, 13
	v_lshrrev_b32_e32 v10, v8, v2
	v_lshlrev_b32_e32 v8, v8, v10
	v_cmp_ne_u32_e32 vcc, v8, v2
	v_cndmask_b32_e64 v2, 0, 1, vcc
	v_add_u32_e32 v3, 0xfffffc10, v3
	v_or_b32_e32 v2, v10, v2
	v_lshl_or_b32 v8, v3, 12, v1
	v_cmp_gt_i32_e32 vcc, 1, v3
	v_cndmask_b32_e32 v2, v8, v2, vcc
	v_and_b32_e32 v8, 7, v2
	v_cmp_lt_i32_e32 vcc, 5, v8
	v_cmp_eq_u32_e64 s[0:1], 3, v8
	v_lshrrev_b32_e32 v8, 16, v5
	v_lshrrev_b32_e32 v2, 2, v2
	s_or_b64 vcc, s[0:1], vcc
	v_mul_f16_sdwa v10, v46, v8 dst_sel:DWORD dst_unused:UNUSED_PAD src0_sel:WORD_1 src1_sel:DWORD
	v_addc_co_u32_e32 v2, vcc, 0, v2, vcc
	v_fma_f16 v10, v46, v5, v10
	v_cmp_gt_i32_e32 vcc, 31, v3
	v_cvt_f32_f16_e32 v10, v10
	v_cndmask_b32_e32 v2, v0, v2, vcc
	v_cmp_ne_u32_e32 vcc, 0, v1
	v_cndmask_b32_e64 v1, 0, 1, vcc
	v_lshl_or_b32 v1, v1, 9, v0
	v_cmp_eq_u32_e32 vcc, s10, v3
	v_cndmask_b32_e32 v3, v2, v1, vcc
	v_cvt_f64_f32_e32 v[1:2], v10
	v_lshrrev_b32_e32 v4, 16, v4
	v_and_or_b32 v3, v4, s11, v3
	v_and_b32_e32 v4, 0xffff, v6
	v_mul_f64 v[1:2], v[1:2], s[2:3]
	v_lshl_or_b32 v6, v3, 16, v4
	v_mov_b32_e32 v4, s4
	v_add_co_u32_e32 v3, vcc, s5, v12
	v_addc_co_u32_e32 v4, vcc, v13, v4, vcc
	global_store_dword v[3:4], v6, off
	v_and_or_b32 v1, v2, s6, v1
	v_cmp_ne_u32_e32 vcc, 0, v1
	v_cndmask_b32_e64 v1, 0, 1, vcc
	v_lshrrev_b32_e32 v6, 8, v2
	v_bfe_u32 v10, v2, 20, 11
	v_and_or_b32 v1, v6, s7, v1
	v_sub_u32_e32 v12, 0x3f1, v10
	v_or_b32_e32 v6, 0x1000, v1
	v_med3_i32 v12, v12, 0, 13
	v_lshrrev_b32_e32 v13, v12, v6
	v_mul_f16_sdwa v5, v46, v5 dst_sel:DWORD dst_unused:UNUSED_PAD src0_sel:WORD_1 src1_sel:DWORD
	v_lshlrev_b32_e32 v12, v12, v13
	v_fma_f16 v5, v46, v8, -v5
	v_cmp_ne_u32_e32 vcc, v12, v6
	v_cvt_f32_f16_e32 v5, v5
	v_cndmask_b32_e64 v6, 0, 1, vcc
	v_add_u32_e32 v10, 0xfffffc10, v10
	v_or_b32_e32 v6, v13, v6
	v_lshl_or_b32 v12, v10, 12, v1
	v_cmp_gt_i32_e32 vcc, 1, v10
	v_cndmask_b32_e32 v6, v12, v6, vcc
	v_and_b32_e32 v12, 7, v6
	v_lshrrev_b32_e32 v8, 2, v6
	v_cvt_f64_f32_e32 v[5:6], v5
	v_cmp_lt_i32_e32 vcc, 5, v12
	v_cmp_eq_u32_e64 s[0:1], 3, v12
	s_or_b64 vcc, s[0:1], vcc
	v_mul_f64 v[5:6], v[5:6], s[2:3]
	v_addc_co_u32_e32 v8, vcc, 0, v8, vcc
	v_cmp_gt_i32_e32 vcc, 31, v10
	v_cndmask_b32_e32 v8, v0, v8, vcc
	v_cmp_ne_u32_e32 vcc, 0, v1
	v_cndmask_b32_e64 v1, 0, 1, vcc
	v_lshl_or_b32 v1, v1, 9, v0
	v_cmp_eq_u32_e32 vcc, s10, v10
	v_cndmask_b32_e32 v1, v8, v1, vcc
	v_lshrrev_b32_e32 v2, 16, v2
	v_and_or_b32 v8, v2, s11, v1
	v_and_or_b32 v1, v6, s6, v5
	v_cmp_ne_u32_e32 vcc, 0, v1
	v_cndmask_b32_e64 v1, 0, 1, vcc
	v_lshrrev_b32_e32 v2, 8, v6
	v_bfe_u32 v5, v6, 20, 11
	v_and_or_b32 v1, v2, s7, v1
	v_sub_u32_e32 v10, 0x3f1, v5
	v_or_b32_e32 v2, 0x1000, v1
	v_med3_i32 v10, v10, 0, 13
	v_lshrrev_b32_e32 v12, v10, v2
	v_lshlrev_b32_e32 v10, v10, v12
	v_cmp_ne_u32_e32 vcc, v10, v2
	v_cndmask_b32_e64 v2, 0, 1, vcc
	v_add_u32_e32 v5, 0xfffffc10, v5
	v_or_b32_e32 v2, v12, v2
	v_lshl_or_b32 v10, v5, 12, v1
	v_cmp_gt_i32_e32 vcc, 1, v5
	v_cndmask_b32_e32 v2, v10, v2, vcc
	v_and_b32_e32 v10, 7, v2
	v_cmp_lt_i32_e32 vcc, 5, v10
	v_cmp_eq_u32_e64 s[0:1], 3, v10
	v_lshrrev_b32_e32 v10, 16, v7
	v_lshrrev_b32_e32 v2, 2, v2
	s_or_b64 vcc, s[0:1], vcc
	v_mul_f16_sdwa v12, v45, v10 dst_sel:DWORD dst_unused:UNUSED_PAD src0_sel:WORD_1 src1_sel:DWORD
	v_addc_co_u32_e32 v2, vcc, 0, v2, vcc
	v_fma_f16 v12, v45, v7, v12
	v_cmp_gt_i32_e32 vcc, 31, v5
	v_cvt_f32_f16_e32 v12, v12
	v_cndmask_b32_e32 v2, v0, v2, vcc
	v_cmp_ne_u32_e32 vcc, 0, v1
	v_cndmask_b32_e64 v1, 0, 1, vcc
	v_lshl_or_b32 v1, v1, 9, v0
	v_cmp_eq_u32_e32 vcc, s10, v5
	v_cndmask_b32_e32 v5, v2, v1, vcc
	v_cvt_f64_f32_e32 v[1:2], v12
	v_lshrrev_b32_e32 v6, 16, v6
	v_and_or_b32 v5, v6, s11, v5
	v_and_b32_e32 v6, 0xffff, v8
	v_mul_f64 v[1:2], v[1:2], s[2:3]
	v_lshl_or_b32 v5, v5, 16, v6
	v_mov_b32_e32 v6, s4
	v_add_co_u32_e32 v3, vcc, s5, v3
	v_addc_co_u32_e32 v4, vcc, v4, v6, vcc
	global_store_dword v[3:4], v5, off
	v_and_or_b32 v1, v2, s6, v1
	v_cmp_ne_u32_e32 vcc, 0, v1
	v_cndmask_b32_e64 v1, 0, 1, vcc
	v_lshrrev_b32_e32 v5, 8, v2
	v_bfe_u32 v6, v2, 20, 11
	v_and_or_b32 v1, v5, s7, v1
	v_sub_u32_e32 v8, 0x3f1, v6
	v_or_b32_e32 v5, 0x1000, v1
	v_med3_i32 v8, v8, 0, 13
	v_lshrrev_b32_e32 v12, v8, v5
	v_lshlrev_b32_e32 v8, v8, v12
	v_mul_f16_sdwa v7, v45, v7 dst_sel:DWORD dst_unused:UNUSED_PAD src0_sel:WORD_1 src1_sel:DWORD
	v_cmp_ne_u32_e32 vcc, v8, v5
	v_fma_f16 v7, v45, v10, -v7
	v_cndmask_b32_e64 v5, 0, 1, vcc
	v_add_u32_e32 v8, 0xfffffc10, v6
	v_cvt_f32_f16_e32 v7, v7
	v_or_b32_e32 v5, v12, v5
	v_lshl_or_b32 v6, v8, 12, v1
	v_cmp_gt_i32_e32 vcc, 1, v8
	v_cndmask_b32_e32 v5, v6, v5, vcc
	v_and_b32_e32 v6, 7, v5
	v_cmp_lt_i32_e32 vcc, 5, v6
	v_cmp_eq_u32_e64 s[0:1], 3, v6
	v_lshrrev_b32_e32 v10, 2, v5
	v_cvt_f64_f32_e32 v[5:6], v7
	s_or_b64 vcc, s[0:1], vcc
	v_addc_co_u32_e32 v7, vcc, 0, v10, vcc
	v_mul_f64 v[5:6], v[5:6], s[2:3]
	v_cmp_gt_i32_e32 vcc, 31, v8
	v_cndmask_b32_e32 v7, v0, v7, vcc
	v_cmp_ne_u32_e32 vcc, 0, v1
	v_cndmask_b32_e64 v1, 0, 1, vcc
	v_lshl_or_b32 v1, v1, 9, v0
	v_cmp_eq_u32_e32 vcc, s10, v8
	v_cndmask_b32_e32 v1, v7, v1, vcc
	v_lshrrev_b32_e32 v2, 16, v2
	v_and_or_b32 v7, v2, s11, v1
	v_and_or_b32 v1, v6, s6, v5
	v_cmp_ne_u32_e32 vcc, 0, v1
	v_cndmask_b32_e64 v1, 0, 1, vcc
	v_lshrrev_b32_e32 v2, 8, v6
	v_bfe_u32 v5, v6, 20, 11
	v_and_or_b32 v1, v2, s7, v1
	v_sub_u32_e32 v8, 0x3f1, v5
	v_or_b32_e32 v2, 0x1000, v1
	v_med3_i32 v8, v8, 0, 13
	v_lshrrev_b32_e32 v10, v8, v2
	v_lshlrev_b32_e32 v8, v8, v10
	v_cmp_ne_u32_e32 vcc, v8, v2
	v_cndmask_b32_e64 v2, 0, 1, vcc
	v_add_u32_e32 v5, 0xfffffc10, v5
	v_or_b32_e32 v2, v10, v2
	v_lshl_or_b32 v8, v5, 12, v1
	v_cmp_gt_i32_e32 vcc, 1, v5
	v_cndmask_b32_e32 v2, v8, v2, vcc
	v_and_b32_e32 v8, 7, v2
	v_cmp_lt_i32_e32 vcc, 5, v8
	v_cmp_eq_u32_e64 s[0:1], 3, v8
	v_lshrrev_b32_e32 v8, 16, v9
	v_lshrrev_b32_e32 v2, 2, v2
	s_or_b64 vcc, s[0:1], vcc
	v_mul_f16_sdwa v10, v44, v8 dst_sel:DWORD dst_unused:UNUSED_PAD src0_sel:WORD_1 src1_sel:DWORD
	v_addc_co_u32_e32 v2, vcc, 0, v2, vcc
	v_fma_f16 v10, v44, v9, v10
	v_cmp_gt_i32_e32 vcc, 31, v5
	v_cvt_f32_f16_e32 v10, v10
	v_cndmask_b32_e32 v2, v0, v2, vcc
	v_cmp_ne_u32_e32 vcc, 0, v1
	v_cndmask_b32_e64 v1, 0, 1, vcc
	v_lshl_or_b32 v1, v1, 9, v0
	v_cmp_eq_u32_e32 vcc, s10, v5
	v_cndmask_b32_e32 v5, v2, v1, vcc
	v_cvt_f64_f32_e32 v[1:2], v10
	v_lshrrev_b32_e32 v6, 16, v6
	v_and_or_b32 v5, v6, s11, v5
	v_and_b32_e32 v6, 0xffff, v7
	v_mul_f64 v[1:2], v[1:2], s[2:3]
	v_lshl_or_b32 v5, v5, 16, v6
	v_mov_b32_e32 v6, s4
	v_add_co_u32_e32 v3, vcc, s5, v3
	v_addc_co_u32_e32 v4, vcc, v4, v6, vcc
	global_store_dword v[3:4], v5, off
	v_and_or_b32 v1, v2, s6, v1
	v_cmp_ne_u32_e32 vcc, 0, v1
	v_cndmask_b32_e64 v1, 0, 1, vcc
	v_lshrrev_b32_e32 v5, 8, v2
	v_bfe_u32 v6, v2, 20, 11
	v_and_or_b32 v1, v5, s7, v1
	v_sub_u32_e32 v7, 0x3f1, v6
	v_or_b32_e32 v5, 0x1000, v1
	v_med3_i32 v7, v7, 0, 13
	v_lshrrev_b32_e32 v10, v7, v5
	v_lshlrev_b32_e32 v7, v7, v10
	v_mul_f16_sdwa v9, v44, v9 dst_sel:DWORD dst_unused:UNUSED_PAD src0_sel:WORD_1 src1_sel:DWORD
	v_cmp_ne_u32_e32 vcc, v7, v5
	v_fma_f16 v8, v44, v8, -v9
	v_cndmask_b32_e64 v5, 0, 1, vcc
	v_add_u32_e32 v7, 0xfffffc10, v6
	v_cvt_f32_f16_e32 v8, v8
	v_or_b32_e32 v5, v10, v5
	v_lshl_or_b32 v6, v7, 12, v1
	v_cmp_gt_i32_e32 vcc, 1, v7
	v_cndmask_b32_e32 v5, v6, v5, vcc
	v_and_b32_e32 v6, 7, v5
	v_cmp_lt_i32_e32 vcc, 5, v6
	v_cmp_eq_u32_e64 s[0:1], 3, v6
	v_lshrrev_b32_e32 v9, 2, v5
	v_cvt_f64_f32_e32 v[5:6], v8
	s_or_b64 vcc, s[0:1], vcc
	v_addc_co_u32_e32 v8, vcc, 0, v9, vcc
	v_mul_f64 v[5:6], v[5:6], s[2:3]
	v_cmp_gt_i32_e32 vcc, 31, v7
	v_cndmask_b32_e32 v8, v0, v8, vcc
	v_cmp_ne_u32_e32 vcc, 0, v1
	v_cndmask_b32_e64 v1, 0, 1, vcc
	v_lshl_or_b32 v1, v1, 9, v0
	v_cmp_eq_u32_e32 vcc, s10, v7
	v_cndmask_b32_e32 v1, v8, v1, vcc
	v_lshrrev_b32_e32 v2, 16, v2
	v_and_or_b32 v7, v2, s11, v1
	v_and_or_b32 v1, v6, s6, v5
	v_cmp_ne_u32_e32 vcc, 0, v1
	v_cndmask_b32_e64 v1, 0, 1, vcc
	v_lshrrev_b32_e32 v2, 8, v6
	v_bfe_u32 v5, v6, 20, 11
	v_and_or_b32 v1, v2, s7, v1
	v_sub_u32_e32 v8, 0x3f1, v5
	v_or_b32_e32 v2, 0x1000, v1
	v_med3_i32 v8, v8, 0, 13
	v_lshrrev_b32_e32 v9, v8, v2
	v_lshlrev_b32_e32 v8, v8, v9
	v_cmp_ne_u32_e32 vcc, v8, v2
	v_cndmask_b32_e64 v2, 0, 1, vcc
	v_add_u32_e32 v5, 0xfffffc10, v5
	v_or_b32_e32 v2, v9, v2
	v_lshl_or_b32 v8, v5, 12, v1
	v_cmp_gt_i32_e32 vcc, 1, v5
	v_cndmask_b32_e32 v2, v8, v2, vcc
	v_and_b32_e32 v8, 7, v2
	v_cmp_lt_i32_e32 vcc, 5, v8
	v_cmp_eq_u32_e64 s[0:1], 3, v8
	v_lshrrev_b32_e32 v8, 16, v11
	v_lshrrev_b32_e32 v2, 2, v2
	s_or_b64 vcc, s[0:1], vcc
	v_mul_f16_sdwa v9, v43, v8 dst_sel:DWORD dst_unused:UNUSED_PAD src0_sel:WORD_1 src1_sel:DWORD
	v_addc_co_u32_e32 v2, vcc, 0, v2, vcc
	v_fma_f16 v9, v43, v11, v9
	v_cmp_gt_i32_e32 vcc, 31, v5
	v_cvt_f32_f16_e32 v9, v9
	v_cndmask_b32_e32 v2, v0, v2, vcc
	v_cmp_ne_u32_e32 vcc, 0, v1
	v_cndmask_b32_e64 v1, 0, 1, vcc
	v_lshl_or_b32 v1, v1, 9, v0
	v_cmp_eq_u32_e32 vcc, s10, v5
	v_cndmask_b32_e32 v5, v2, v1, vcc
	v_cvt_f64_f32_e32 v[1:2], v9
	v_lshrrev_b32_e32 v6, 16, v6
	v_and_or_b32 v5, v6, s11, v5
	v_and_b32_e32 v6, 0xffff, v7
	v_mul_f64 v[1:2], v[1:2], s[2:3]
	v_lshl_or_b32 v5, v5, 16, v6
	v_mov_b32_e32 v6, s4
	v_add_co_u32_e32 v3, vcc, s5, v3
	v_addc_co_u32_e32 v4, vcc, v4, v6, vcc
	global_store_dword v[3:4], v5, off
	v_and_or_b32 v1, v2, s6, v1
	v_cmp_ne_u32_e32 vcc, 0, v1
	v_cndmask_b32_e64 v1, 0, 1, vcc
	v_lshrrev_b32_e32 v5, 8, v2
	v_bfe_u32 v6, v2, 20, 11
	v_and_or_b32 v1, v5, s7, v1
	v_sub_u32_e32 v7, 0x3f1, v6
	v_or_b32_e32 v5, 0x1000, v1
	v_med3_i32 v7, v7, 0, 13
	v_lshrrev_b32_e32 v9, v7, v5
	v_lshlrev_b32_e32 v7, v7, v9
	v_cmp_ne_u32_e32 vcc, v7, v5
	v_cndmask_b32_e64 v5, 0, 1, vcc
	v_or_b32_e32 v5, v9, v5
	v_mul_f16_sdwa v9, v43, v11 dst_sel:DWORD dst_unused:UNUSED_PAD src0_sel:WORD_1 src1_sel:DWORD
	v_fma_f16 v8, v43, v8, -v9
	v_add_u32_e32 v7, 0xfffffc10, v6
	v_cvt_f32_f16_e32 v8, v8
	v_lshl_or_b32 v6, v7, 12, v1
	v_cmp_gt_i32_e32 vcc, 1, v7
	v_cndmask_b32_e32 v5, v6, v5, vcc
	v_and_b32_e32 v6, 7, v5
	v_cmp_lt_i32_e32 vcc, 5, v6
	v_cmp_eq_u32_e64 s[0:1], 3, v6
	v_lshrrev_b32_e32 v9, 2, v5
	v_cvt_f64_f32_e32 v[5:6], v8
	s_or_b64 vcc, s[0:1], vcc
	v_addc_co_u32_e32 v8, vcc, 0, v9, vcc
	v_mul_f64 v[5:6], v[5:6], s[2:3]
	v_cmp_gt_i32_e32 vcc, 31, v7
	v_cndmask_b32_e32 v8, v0, v8, vcc
	v_cmp_ne_u32_e32 vcc, 0, v1
	v_cndmask_b32_e64 v1, 0, 1, vcc
	v_lshl_or_b32 v1, v1, 9, v0
	v_cmp_eq_u32_e32 vcc, s10, v7
	v_cndmask_b32_e32 v1, v8, v1, vcc
	v_lshrrev_b32_e32 v2, 16, v2
	v_and_or_b32 v1, v2, s11, v1
	v_and_or_b32 v2, v6, s6, v5
	v_cmp_ne_u32_e32 vcc, 0, v2
	v_cndmask_b32_e64 v2, 0, 1, vcc
	v_lshrrev_b32_e32 v5, 8, v6
	v_bfe_u32 v7, v6, 20, 11
	v_and_or_b32 v2, v5, s7, v2
	v_sub_u32_e32 v8, 0x3f1, v7
	v_or_b32_e32 v5, 0x1000, v2
	v_med3_i32 v8, v8, 0, 13
	v_lshrrev_b32_e32 v9, v8, v5
	v_lshlrev_b32_e32 v8, v8, v9
	v_cmp_ne_u32_e32 vcc, v8, v5
	v_cndmask_b32_e64 v5, 0, 1, vcc
	v_add_u32_e32 v7, 0xfffffc10, v7
	v_or_b32_e32 v5, v9, v5
	v_lshl_or_b32 v8, v7, 12, v2
	v_cmp_gt_i32_e32 vcc, 1, v7
	v_cndmask_b32_e32 v5, v8, v5, vcc
	v_and_b32_e32 v8, 7, v5
	v_cmp_lt_i32_e32 vcc, 5, v8
	v_cmp_eq_u32_e64 s[0:1], 3, v8
	v_lshrrev_b32_e32 v5, 2, v5
	s_or_b64 vcc, s[0:1], vcc
	v_addc_co_u32_e32 v5, vcc, 0, v5, vcc
	v_cmp_gt_i32_e32 vcc, 31, v7
	v_cndmask_b32_e32 v5, v0, v5, vcc
	v_cmp_ne_u32_e32 vcc, 0, v2
	v_cndmask_b32_e64 v2, 0, 1, vcc
	v_lshl_or_b32 v0, v2, 9, v0
	v_cmp_eq_u32_e32 vcc, s10, v7
	v_cndmask_b32_e32 v0, v5, v0, vcc
	v_lshrrev_b32_e32 v2, 16, v6
	v_and_or_b32 v0, v2, s11, v0
	v_and_b32_e32 v1, 0xffff, v1
	v_lshl_or_b32 v2, v0, 16, v1
	v_mov_b32_e32 v1, s4
	v_add_co_u32_e32 v0, vcc, s5, v3
	v_addc_co_u32_e32 v1, vcc, v4, v1, vcc
	global_store_dword v[0:1], v2, off
.LBB0_2:
	s_endpgm
	.section	.rodata,"a",@progbits
	.p2align	6, 0x0
	.amdhsa_kernel bluestein_single_back_len2916_dim1_half_op_CI_CI
		.amdhsa_group_segment_fixed_size 11664
		.amdhsa_private_segment_fixed_size 0
		.amdhsa_kernarg_size 104
		.amdhsa_user_sgpr_count 6
		.amdhsa_user_sgpr_private_segment_buffer 1
		.amdhsa_user_sgpr_dispatch_ptr 0
		.amdhsa_user_sgpr_queue_ptr 0
		.amdhsa_user_sgpr_kernarg_segment_ptr 1
		.amdhsa_user_sgpr_dispatch_id 0
		.amdhsa_user_sgpr_flat_scratch_init 0
		.amdhsa_user_sgpr_private_segment_size 0
		.amdhsa_uses_dynamic_stack 0
		.amdhsa_system_sgpr_private_segment_wavefront_offset 0
		.amdhsa_system_sgpr_workgroup_id_x 1
		.amdhsa_system_sgpr_workgroup_id_y 0
		.amdhsa_system_sgpr_workgroup_id_z 0
		.amdhsa_system_sgpr_workgroup_info 0
		.amdhsa_system_vgpr_workitem_id 0
		.amdhsa_next_free_vgpr 106
		.amdhsa_next_free_sgpr 20
		.amdhsa_reserve_vcc 1
		.amdhsa_reserve_flat_scratch 0
		.amdhsa_float_round_mode_32 0
		.amdhsa_float_round_mode_16_64 0
		.amdhsa_float_denorm_mode_32 3
		.amdhsa_float_denorm_mode_16_64 3
		.amdhsa_dx10_clamp 1
		.amdhsa_ieee_mode 1
		.amdhsa_fp16_overflow 0
		.amdhsa_exception_fp_ieee_invalid_op 0
		.amdhsa_exception_fp_denorm_src 0
		.amdhsa_exception_fp_ieee_div_zero 0
		.amdhsa_exception_fp_ieee_overflow 0
		.amdhsa_exception_fp_ieee_underflow 0
		.amdhsa_exception_fp_ieee_inexact 0
		.amdhsa_exception_int_div_zero 0
	.end_amdhsa_kernel
	.text
.Lfunc_end0:
	.size	bluestein_single_back_len2916_dim1_half_op_CI_CI, .Lfunc_end0-bluestein_single_back_len2916_dim1_half_op_CI_CI
                                        ; -- End function
	.section	.AMDGPU.csdata,"",@progbits
; Kernel info:
; codeLenInByte = 19728
; NumSgprs: 24
; NumVgprs: 106
; ScratchSize: 0
; MemoryBound: 0
; FloatMode: 240
; IeeeMode: 1
; LDSByteSize: 11664 bytes/workgroup (compile time only)
; SGPRBlocks: 2
; VGPRBlocks: 26
; NumSGPRsForWavesPerEU: 24
; NumVGPRsForWavesPerEU: 106
; Occupancy: 2
; WaveLimiterHint : 1
; COMPUTE_PGM_RSRC2:SCRATCH_EN: 0
; COMPUTE_PGM_RSRC2:USER_SGPR: 6
; COMPUTE_PGM_RSRC2:TRAP_HANDLER: 0
; COMPUTE_PGM_RSRC2:TGID_X_EN: 1
; COMPUTE_PGM_RSRC2:TGID_Y_EN: 0
; COMPUTE_PGM_RSRC2:TGID_Z_EN: 0
; COMPUTE_PGM_RSRC2:TIDIG_COMP_CNT: 0
	.type	__hip_cuid_bea08632a61bf99,@object ; @__hip_cuid_bea08632a61bf99
	.section	.bss,"aw",@nobits
	.globl	__hip_cuid_bea08632a61bf99
__hip_cuid_bea08632a61bf99:
	.byte	0                               ; 0x0
	.size	__hip_cuid_bea08632a61bf99, 1

	.ident	"AMD clang version 19.0.0git (https://github.com/RadeonOpenCompute/llvm-project roc-6.4.0 25133 c7fe45cf4b819c5991fe208aaa96edf142730f1d)"
	.section	".note.GNU-stack","",@progbits
	.addrsig
	.addrsig_sym __hip_cuid_bea08632a61bf99
	.amdgpu_metadata
---
amdhsa.kernels:
  - .args:
      - .actual_access:  read_only
        .address_space:  global
        .offset:         0
        .size:           8
        .value_kind:     global_buffer
      - .actual_access:  read_only
        .address_space:  global
        .offset:         8
        .size:           8
        .value_kind:     global_buffer
      - .actual_access:  read_only
        .address_space:  global
        .offset:         16
        .size:           8
        .value_kind:     global_buffer
      - .actual_access:  read_only
        .address_space:  global
        .offset:         24
        .size:           8
        .value_kind:     global_buffer
      - .actual_access:  read_only
        .address_space:  global
        .offset:         32
        .size:           8
        .value_kind:     global_buffer
      - .offset:         40
        .size:           8
        .value_kind:     by_value
      - .address_space:  global
        .offset:         48
        .size:           8
        .value_kind:     global_buffer
      - .address_space:  global
        .offset:         56
        .size:           8
        .value_kind:     global_buffer
      - .address_space:  global
        .offset:         64
        .size:           8
        .value_kind:     global_buffer
      - .address_space:  global
        .offset:         72
        .size:           8
        .value_kind:     global_buffer
      - .offset:         80
        .size:           4
        .value_kind:     by_value
      - .address_space:  global
        .offset:         88
        .size:           8
        .value_kind:     global_buffer
      - .address_space:  global
        .offset:         96
        .size:           8
        .value_kind:     global_buffer
    .group_segment_fixed_size: 11664
    .kernarg_segment_align: 8
    .kernarg_segment_size: 104
    .language:       OpenCL C
    .language_version:
      - 2
      - 0
    .max_flat_workgroup_size: 243
    .name:           bluestein_single_back_len2916_dim1_half_op_CI_CI
    .private_segment_fixed_size: 0
    .sgpr_count:     24
    .sgpr_spill_count: 0
    .symbol:         bluestein_single_back_len2916_dim1_half_op_CI_CI.kd
    .uniform_work_group_size: 1
    .uses_dynamic_stack: false
    .vgpr_count:     106
    .vgpr_spill_count: 0
    .wavefront_size: 64
amdhsa.target:   amdgcn-amd-amdhsa--gfx906
amdhsa.version:
  - 1
  - 2
...

	.end_amdgpu_metadata
